;; amdgpu-corpus repo=ROCm/rocFFT kind=compiled arch=gfx1030 opt=O3
	.text
	.amdgcn_target "amdgcn-amd-amdhsa--gfx1030"
	.amdhsa_code_object_version 6
	.protected	bluestein_single_back_len110_dim1_half_op_CI_CI ; -- Begin function bluestein_single_back_len110_dim1_half_op_CI_CI
	.globl	bluestein_single_back_len110_dim1_half_op_CI_CI
	.p2align	8
	.type	bluestein_single_back_len110_dim1_half_op_CI_CI,@function
bluestein_single_back_len110_dim1_half_op_CI_CI: ; @bluestein_single_back_len110_dim1_half_op_CI_CI
; %bb.0:
	s_load_dwordx4 s[8:11], s[4:5], 0x28
	v_mul_u32_u24_e32 v1, 0x1746, v0
	s_mov_b32 s0, exec_lo
	v_lshrrev_b32_e32 v1, 16, v1
	v_mad_u64_u32 v[16:17], null, s6, 18, v[1:2]
	v_mov_b32_e32 v17, 0
	s_waitcnt lgkmcnt(0)
	v_cmpx_gt_u64_e64 s[8:9], v[16:17]
	s_cbranch_execz .LBB0_10
; %bb.1:
	s_clause 0x1
	s_load_dwordx4 s[0:3], s[4:5], 0x18
	s_load_dwordx4 s[12:15], s[4:5], 0x0
	v_mul_lo_u16 v1, v1, 11
	v_sub_nc_u16 v8, v0, v1
	v_and_b32_e32 v40, 0xffff, v8
	v_lshlrev_b32_e32 v45, 2, v40
	s_waitcnt lgkmcnt(0)
	s_load_dwordx4 s[16:19], s[0:1], 0x0
	s_clause 0x1
	global_load_dword v43, v45, s[12:13]
	global_load_dword v42, v45, s[12:13] offset:220
	s_waitcnt lgkmcnt(0)
	v_mad_u64_u32 v[0:1], null, s18, v16, 0
	v_mad_u64_u32 v[2:3], null, s16, v40, 0
	s_mul_i32 s0, s17, 0xdc
	s_mul_hi_u32 s1, s16, 0xdc
	s_mul_i32 s6, s16, 0xdc
	s_add_i32 s1, s1, s0
	s_mul_hi_u32 s8, s16, 0xffffff50
	s_mul_i32 s7, s17, 0xffffff50
	v_mad_u64_u32 v[4:5], null, s19, v16, v[1:2]
	s_mul_i32 s9, s16, 0xffffff50
	s_sub_i32 s0, s8, s16
	s_add_i32 s0, s0, s7
	v_mad_u64_u32 v[5:6], null, s17, v40, v[3:4]
	v_mov_b32_e32 v1, v4
	v_lshlrev_b64 v[0:1], 2, v[0:1]
	v_mov_b32_e32 v3, v5
	v_add_co_u32 v0, vcc_lo, s10, v0
	v_lshlrev_b64 v[2:3], 2, v[2:3]
	v_add_co_ci_u32_e32 v1, vcc_lo, s11, v1, vcc_lo
	v_add_co_u32 v0, vcc_lo, v0, v2
	v_add_co_ci_u32_e32 v1, vcc_lo, v1, v3, vcc_lo
	v_add_co_u32 v2, vcc_lo, v0, s6
	v_add_co_ci_u32_e32 v3, vcc_lo, s1, v1, vcc_lo
	s_clause 0x1
	global_load_dword v4, v[0:1], off
	global_load_dword v5, v[2:3], off
	v_add_co_u32 v0, vcc_lo, v2, s9
	v_add_co_ci_u32_e32 v1, vcc_lo, s0, v3, vcc_lo
	v_add_co_u32 v2, vcc_lo, v0, s6
	v_add_co_ci_u32_e32 v3, vcc_lo, s1, v1, vcc_lo
	global_load_dword v41, v45, s[12:13] offset:44
	global_load_dword v6, v[0:1], off
	s_clause 0x1
	global_load_dword v39, v45, s[12:13] offset:264
	global_load_dword v37, v45, s[12:13] offset:308
	global_load_dword v7, v[2:3], off
	v_add_co_u32 v0, vcc_lo, v2, s9
	v_add_co_ci_u32_e32 v1, vcc_lo, s0, v3, vcc_lo
	s_clause 0x1
	global_load_dword v38, v45, s[12:13] offset:88
	global_load_dword v35, v45, s[12:13] offset:132
	v_add_co_u32 v2, vcc_lo, v0, s6
	v_add_co_ci_u32_e32 v3, vcc_lo, s1, v1, vcc_lo
	global_load_dword v9, v[0:1], off
	v_add_co_u32 v0, vcc_lo, v2, s9
	v_add_co_ci_u32_e32 v1, vcc_lo, s0, v3, vcc_lo
	global_load_dword v10, v[2:3], off
	v_add_co_u32 v2, vcc_lo, v0, s6
	v_add_co_ci_u32_e32 v3, vcc_lo, s1, v1, vcc_lo
	global_load_dword v11, v[0:1], off
	v_add_co_u32 v0, vcc_lo, v2, s9
	v_add_co_ci_u32_e32 v1, vcc_lo, s0, v3, vcc_lo
	global_load_dword v12, v[2:3], off
	v_add_co_u32 v2, vcc_lo, v0, s6
	v_add_co_ci_u32_e32 v3, vcc_lo, s1, v1, vcc_lo
	global_load_dword v34, v45, s[12:13] offset:352
	global_load_dword v0, v[0:1], off
	global_load_dword v1, v[2:3], off
	s_clause 0x1
	global_load_dword v33, v45, s[12:13] offset:176
	global_load_dword v32, v45, s[12:13] offset:396
	v_mul_hi_u32 v2, 0x38e38e39, v16
	s_load_dwordx4 s[8:11], s[2:3], 0x0
	v_cmp_gt_u16_e32 vcc_lo, 10, v8
	s_load_dwordx2 s[2:3], s[4:5], 0x38
	v_lshrrev_b32_e32 v2, 2, v2
	v_mul_lo_u32 v2, v2, 18
	v_sub_nc_u32_e32 v2, v16, v2
	v_mul_u32_u24_e32 v2, 0x6e, v2
	v_lshlrev_b32_e32 v44, 2, v2
	v_add_nc_u32_e32 v36, v45, v44
	v_lshl_add_u32 v50, v40, 3, v44
	s_waitcnt vmcnt(17)
	v_lshrrev_b32_e32 v3, 16, v4
	v_mul_f16_sdwa v2, v43, v4 dst_sel:DWORD dst_unused:UNUSED_PAD src0_sel:WORD_1 src1_sel:DWORD
	s_waitcnt vmcnt(16)
	v_lshrrev_b32_e32 v14, 16, v5
	v_mul_f16_sdwa v15, v42, v5 dst_sel:DWORD dst_unused:UNUSED_PAD src0_sel:WORD_1 src1_sel:DWORD
	v_mul_f16_sdwa v13, v43, v3 dst_sel:DWORD dst_unused:UNUSED_PAD src0_sel:WORD_1 src1_sel:DWORD
	v_fma_f16 v2, v43, v3, -v2
	v_mul_f16_sdwa v3, v42, v14 dst_sel:DWORD dst_unused:UNUSED_PAD src0_sel:WORD_1 src1_sel:DWORD
	v_fma_f16 v14, v42, v14, -v15
	v_fmac_f16_e32 v13, v43, v4
	s_waitcnt vmcnt(14)
	v_lshrrev_b32_e32 v4, 16, v6
	v_mul_f16_sdwa v15, v41, v6 dst_sel:DWORD dst_unused:UNUSED_PAD src0_sel:WORD_1 src1_sel:DWORD
	v_fmac_f16_e32 v3, v42, v5
	s_waitcnt vmcnt(11)
	v_mul_f16_sdwa v17, v39, v7 dst_sel:DWORD dst_unused:UNUSED_PAD src0_sel:WORD_1 src1_sel:DWORD
	v_pack_b32_f16 v2, v13, v2
	v_mul_f16_sdwa v5, v41, v4 dst_sel:DWORD dst_unused:UNUSED_PAD src0_sel:WORD_1 src1_sel:DWORD
	v_lshrrev_b32_e32 v13, 16, v7
	v_fma_f16 v4, v41, v4, -v15
	v_pack_b32_f16 v3, v3, v14
	v_fmac_f16_e32 v5, v41, v6
	v_mul_f16_sdwa v6, v39, v13 dst_sel:DWORD dst_unused:UNUSED_PAD src0_sel:WORD_1 src1_sel:DWORD
	s_waitcnt vmcnt(8)
	v_lshrrev_b32_e32 v14, 16, v9
	v_mul_f16_sdwa v15, v38, v9 dst_sel:DWORD dst_unused:UNUSED_PAD src0_sel:WORD_1 src1_sel:DWORD
	ds_write_b32 v36, v3 offset:220
	v_pack_b32_f16 v3, v5, v4
	v_fma_f16 v13, v39, v13, -v17
	v_mul_f16_sdwa v4, v38, v14 dst_sel:DWORD dst_unused:UNUSED_PAD src0_sel:WORD_1 src1_sel:DWORD
	v_fmac_f16_e32 v6, v39, v7
	v_fma_f16 v5, v38, v14, -v15
	s_waitcnt vmcnt(7)
	v_lshrrev_b32_e32 v7, 16, v10
	v_mul_f16_sdwa v14, v37, v10 dst_sel:DWORD dst_unused:UNUSED_PAD src0_sel:WORD_1 src1_sel:DWORD
	v_fmac_f16_e32 v4, v38, v9
	s_waitcnt vmcnt(6)
	v_lshrrev_b32_e32 v9, 16, v11
	v_pack_b32_f16 v6, v6, v13
	v_mul_f16_sdwa v13, v37, v7 dst_sel:DWORD dst_unused:UNUSED_PAD src0_sel:WORD_1 src1_sel:DWORD
	v_fma_f16 v7, v37, v7, -v14
	v_mul_f16_sdwa v14, v35, v11 dst_sel:DWORD dst_unused:UNUSED_PAD src0_sel:WORD_1 src1_sel:DWORD
	v_pack_b32_f16 v4, v4, v5
	v_mul_f16_sdwa v5, v35, v9 dst_sel:DWORD dst_unused:UNUSED_PAD src0_sel:WORD_1 src1_sel:DWORD
	v_fmac_f16_e32 v13, v37, v10
	s_waitcnt vmcnt(5)
	v_lshrrev_b32_e32 v10, 16, v12
	v_fma_f16 v9, v35, v9, -v14
	s_waitcnt vmcnt(4)
	v_mul_f16_sdwa v14, v34, v12 dst_sel:DWORD dst_unused:UNUSED_PAD src0_sel:WORD_1 src1_sel:DWORD
	v_fmac_f16_e32 v5, v35, v11
	s_waitcnt vmcnt(3)
	v_lshrrev_b32_e32 v11, 16, v0
	s_waitcnt vmcnt(2)
	v_lshrrev_b32_e32 v17, 16, v1
	v_mul_f16_sdwa v15, v34, v10 dst_sel:DWORD dst_unused:UNUSED_PAD src0_sel:WORD_1 src1_sel:DWORD
	v_fma_f16 v10, v34, v10, -v14
	s_waitcnt vmcnt(1)
	v_mul_f16_sdwa v14, v33, v0 dst_sel:DWORD dst_unused:UNUSED_PAD src0_sel:WORD_1 src1_sel:DWORD
	v_mul_f16_sdwa v18, v33, v11 dst_sel:DWORD dst_unused:UNUSED_PAD src0_sel:WORD_1 src1_sel:DWORD
	s_waitcnt vmcnt(0)
	v_mul_f16_sdwa v19, v32, v1 dst_sel:DWORD dst_unused:UNUSED_PAD src0_sel:WORD_1 src1_sel:DWORD
	v_mul_f16_sdwa v20, v32, v17 dst_sel:DWORD dst_unused:UNUSED_PAD src0_sel:WORD_1 src1_sel:DWORD
	v_fmac_f16_e32 v15, v34, v12
	v_fma_f16 v11, v33, v11, -v14
	v_fmac_f16_e32 v18, v33, v0
	v_fma_f16 v0, v32, v17, -v19
	v_fmac_f16_e32 v20, v32, v1
	v_pack_b32_f16 v1, v13, v7
	v_pack_b32_f16 v5, v5, v9
	;; [unrolled: 1-line block ×5, first 2 shown]
	ds_write2_b32 v36, v2, v3 offset1:11
	ds_write2_b32 v36, v6, v1 offset0:66 offset1:77
	ds_write2_b32 v36, v4, v5 offset0:22 offset1:33
	ds_write_b32 v36, v9 offset:176
	ds_write2_b32 v36, v7, v0 offset0:88 offset1:99
	s_waitcnt lgkmcnt(0)
	s_barrier
	buffer_gl0_inv
	ds_read2_b32 v[0:1], v36 offset1:11
	ds_read2_b32 v[2:3], v36 offset0:66 offset1:77
	ds_read2_b32 v[4:5], v36 offset0:44 offset1:55
	;; [unrolled: 1-line block ×4, first 2 shown]
	v_lshlrev_b16 v11, 1, v8
	v_add_nc_u32_e32 v17, 11, v40
	v_and_b32_e32 v19, 1, v40
	s_waitcnt lgkmcnt(0)
	s_barrier
	v_and_b32_e32 v11, 0xffff, v11
	v_and_b32_e32 v20, 1, v17
	v_lshlrev_b32_e32 v18, 4, v19
	v_lshl_add_u32 v46, v17, 3, v44
	buffer_gl0_inv
	v_lshl_add_u32 v47, v11, 2, v44
	v_pk_add_f16 v2, v1, v2 neg_lo:[0,1] neg_hi:[0,1]
	v_pk_add_f16 v11, v0, v5 neg_lo:[0,1] neg_hi:[0,1]
	;; [unrolled: 1-line block ×5, first 2 shown]
	v_pk_fma_f16 v1, v1, 2.0, v2 op_sel_hi:[1,0,1] neg_lo:[0,0,1] neg_hi:[0,0,1]
	v_pk_fma_f16 v10, v0, 2.0, v11 op_sel_hi:[1,0,1] neg_lo:[0,0,1] neg_hi:[0,0,1]
	v_lshlrev_b32_e32 v0, 4, v20
	v_pk_fma_f16 v12, v6, 2.0, v13 op_sel_hi:[1,0,1] neg_lo:[0,0,1] neg_hi:[0,0,1]
	v_pk_fma_f16 v14, v7, 2.0, v15 op_sel_hi:[1,0,1] neg_lo:[0,0,1] neg_hi:[0,0,1]
	;; [unrolled: 1-line block ×3, first 2 shown]
	ds_write_b64 v47, v[10:11]
	ds_write_b64 v46, v[1:2]
	ds_write2_b64 v50, v[12:13], v[14:15] offset0:22 offset1:33
	ds_write_b64 v50, v[4:5] offset:352
	s_waitcnt lgkmcnt(0)
	s_barrier
	buffer_gl0_inv
	s_clause 0x1
	global_load_dwordx4 v[4:7], v18, s[14:15]
	global_load_dwordx4 v[0:3], v0, s[14:15]
	v_lshrrev_b32_e32 v9, 1, v40
	v_lshrrev_b32_e32 v15, 1, v17
	v_mul_u32_u24_e32 v21, 10, v9
	ds_read2_b32 v[22:23], v36 offset1:11
	ds_read2_b32 v[9:10], v36 offset0:22 offset1:33
	ds_read2_b32 v[11:12], v36 offset0:44 offset1:55
	;; [unrolled: 1-line block ×4, first 2 shown]
	v_mul_u32_u24_e32 v15, 10, v15
	s_waitcnt vmcnt(0) lgkmcnt(0)
	s_barrier
	v_or_b32_e32 v8, v21, v19
	v_add_co_u32 v19, s0, s12, v45
	v_or_b32_e32 v15, v15, v20
	v_add_co_ci_u32_e64 v20, null, s13, 0, s0
	v_lshl_add_u32 v49, v8, 2, v44
	buffer_gl0_inv
	v_lshl_add_u32 v48, v15, 2, v44
	v_lshrrev_b32_e32 v62, 16, v22
	v_lshrrev_b32_e32 v8, 16, v9
	;; [unrolled: 1-line block ×10, first 2 shown]
	v_mul_f16_sdwa v29, v8, v4 dst_sel:DWORD dst_unused:UNUSED_PAD src0_sel:DWORD src1_sel:WORD_1
	v_mul_f16_sdwa v30, v9, v4 dst_sel:DWORD dst_unused:UNUSED_PAD src0_sel:DWORD src1_sel:WORD_1
	;; [unrolled: 1-line block ×16, first 2 shown]
	v_fmac_f16_e32 v30, v8, v4
	v_fmac_f16_e32 v51, v15, v5
	v_fmac_f16_e32 v53, v21, v6
	v_fmac_f16_e32 v55, v24, v7
	v_fma_f16 v8, v9, v4, -v29
	v_fma_f16 v9, v11, v5, -v31
	;; [unrolled: 1-line block ×6, first 2 shown]
	v_fmac_f16_e32 v59, v26, v1
	v_fmac_f16_e32 v61, v27, v2
	v_fma_f16 v10, v10, v0, -v56
	v_fmac_f16_e32 v57, v25, v0
	v_fma_f16 v15, v18, v3, -v63
	v_fmac_f16_e32 v66, v28, v3
	v_add_f16_e32 v17, v9, v11
	v_sub_f16_e32 v18, v8, v9
	v_sub_f16_e32 v25, v13, v11
	;; [unrolled: 1-line block ×6, first 2 shown]
	v_add_f16_e32 v64, v51, v53
	v_add_f16_e32 v29, v12, v14
	;; [unrolled: 1-line block ×4, first 2 shown]
	v_sub_f16_e32 v69, v51, v30
	v_sub_f16_e32 v82, v30, v55
	v_add_f16_e32 v30, v8, v13
	v_sub_f16_e32 v70, v53, v55
	v_add_f16_e32 v73, v59, v61
	v_add_f16_e32 v54, v10, v15
	;; [unrolled: 1-line block ×5, first 2 shown]
	v_sub_f16_e32 v8, v8, v13
	v_fma_f16 v24, -0.5, v17, v22
	v_add_f16_e32 v17, v18, v25
	v_add_f16_e32 v18, v26, v27
	;; [unrolled: 1-line block ×3, first 2 shown]
	v_fma_f16 v63, -0.5, v64, v62
	v_sub_f16_e32 v79, v9, v11
	v_sub_f16_e32 v80, v51, v53
	v_fmac_f16_e32 v62, -0.5, v65
	v_fma_f16 v27, -0.5, v29, v23
	v_fma_f16 v29, -0.5, v30, v22
	v_sub_f16_e32 v31, v10, v12
	v_sub_f16_e32 v56, v12, v10
	;; [unrolled: 1-line block ×4, first 2 shown]
	v_add_f16_e32 v75, v68, v57
	v_sub_f16_e32 v76, v59, v57
	v_sub_f16_e32 v57, v57, v66
	v_add_f16_e32 v83, v69, v70
	v_fma_f16 v69, -0.5, v73, v68
	v_sub_f16_e32 v52, v15, v14
	v_sub_f16_e32 v58, v12, v14
	;; [unrolled: 1-line block ×5, first 2 shown]
	v_fmac_f16_e32 v23, -0.5, v54
	v_fmac_f16_e32 v68, -0.5, v74
	v_add_f16_e32 v12, v21, v12
	v_add_f16_e32 v9, v78, v9
	;; [unrolled: 1-line block ×3, first 2 shown]
	v_fmamk_f16 v22, v82, 0x3b9c, v24
	v_fmamk_f16 v64, v8, 0xbb9c, v63
	;; [unrolled: 1-line block ×3, first 2 shown]
	v_fmac_f16_e32 v29, 0x3b9c, v80
	v_fmamk_f16 v65, v79, 0x3b9c, v62
	v_fmac_f16_e32 v62, 0xbb9c, v79
	v_fmac_f16_e32 v24, 0xbb9c, v82
	;; [unrolled: 1-line block ×3, first 2 shown]
	v_add_f16_e32 v25, v75, v59
	v_fmamk_f16 v30, v57, 0x3b9c, v27
	v_fmamk_f16 v70, v10, 0xbb9c, v69
	v_sub_f16_e32 v77, v61, v66
	v_add_f16_e32 v52, v31, v52
	v_add_f16_e32 v54, v56, v60
	v_add_f16_e32 v56, v71, v72
	v_fmamk_f16 v31, v81, 0xbb9c, v23
	v_fmac_f16_e32 v23, 0x3b9c, v81
	v_fmamk_f16 v71, v58, 0x3b9c, v68
	v_fmac_f16_e32 v68, 0xbb9c, v58
	v_add_f16_e32 v9, v9, v11
	v_add_f16_e32 v11, v21, v53
	v_fmac_f16_e32 v27, 0xbb9c, v57
	v_fmac_f16_e32 v69, 0x3b9c, v10
	;; [unrolled: 1-line block ×10, first 2 shown]
	v_add_f16_e32 v12, v12, v14
	v_add_f16_e32 v14, v25, v61
	v_fmac_f16_e32 v30, 0x38b4, v81
	v_fmac_f16_e32 v70, 0xb8b4, v58
	v_add_f16_e32 v60, v76, v77
	v_fmac_f16_e32 v31, 0x38b4, v57
	v_fmac_f16_e32 v23, 0xb8b4, v57
	;; [unrolled: 1-line block ×4, first 2 shown]
	v_add_f16_e32 v21, v9, v13
	v_add_f16_e32 v51, v11, v55
	v_fmac_f16_e32 v27, 0xb8b4, v81
	v_fmac_f16_e32 v69, 0x38b4, v58
	;; [unrolled: 1-line block ×10, first 2 shown]
	v_add_f16_e32 v25, v12, v15
	v_add_f16_e32 v72, v14, v66
	v_fmac_f16_e32 v30, 0x34f2, v52
	v_fmac_f16_e32 v70, 0x34f2, v56
	;; [unrolled: 1-line block ×8, first 2 shown]
	v_pack_b32_f16 v8, v21, v51
	v_pack_b32_f16 v10, v22, v64
	v_pack_b32_f16 v11, v28, v65
	v_pack_b32_f16 v12, v29, v62
	v_pack_b32_f16 v13, v24, v63
	v_pack_b32_f16 v9, v25, v72
	v_pack_b32_f16 v14, v30, v70
	v_pack_b32_f16 v15, v31, v71
	v_pack_b32_f16 v17, v23, v68
	v_pack_b32_f16 v18, v27, v69
	ds_write2_b32 v49, v8, v10 offset1:2
	ds_write2_b32 v49, v11, v12 offset0:4 offset1:6
	ds_write_b32 v49, v13 offset:32
	ds_write2_b32 v48, v9, v14 offset1:2
	ds_write2_b32 v48, v15, v17 offset0:4 offset1:6
	ds_write_b32 v48, v18 offset:32
	s_waitcnt lgkmcnt(0)
	s_barrier
	buffer_gl0_inv
                                        ; implicit-def: $vgpr73
                                        ; implicit-def: $vgpr74
	s_and_saveexec_b32 s0, vcc_lo
	s_cbranch_execz .LBB0_3
; %bb.2:
	ds_read2_b32 v[21:22], v36 offset1:10
	ds_read2_b32 v[28:29], v36 offset0:20 offset1:30
	ds_read2_b32 v[24:25], v36 offset0:40 offset1:50
	;; [unrolled: 1-line block ×4, first 2 shown]
	ds_read_b32 v73, v36 offset:400
	s_waitcnt lgkmcnt(5)
	v_lshrrev_b32_e32 v51, 16, v21
	v_lshrrev_b32_e32 v64, 16, v22
	s_waitcnt lgkmcnt(4)
	v_lshrrev_b32_e32 v65, 16, v28
	v_lshrrev_b32_e32 v62, 16, v29
	s_waitcnt lgkmcnt(3)
	v_lshrrev_b32_e32 v63, 16, v24
	v_lshrrev_b32_e32 v72, 16, v25
	s_waitcnt lgkmcnt(2)
	v_lshrrev_b32_e32 v70, 16, v30
	v_lshrrev_b32_e32 v71, 16, v31
	s_waitcnt lgkmcnt(1)
	v_lshrrev_b32_e32 v68, 16, v26
	v_lshrrev_b32_e32 v69, 16, v27
	s_waitcnt lgkmcnt(0)
	v_lshrrev_b32_e32 v74, 16, v73
	v_mov_b32_e32 v23, v26
.LBB0_3:
	s_or_b32 exec_lo, exec_lo, s0
	v_add_nc_u32_e32 v8, -10, v40
	v_cndmask_b32_e32 v8, v8, v40, vcc_lo
	v_mul_i32_i24_e32 v9, 40, v8
	v_mul_hi_i32_i24_e32 v8, 40, v8
	v_add_co_u32 v17, s0, s14, v9
	v_add_co_ci_u32_e64 v18, s0, s15, v8, s0
	s_clause 0x2
	global_load_dwordx4 v[12:15], v[17:18], off offset:32
	global_load_dwordx4 v[8:11], v[17:18], off offset:48
	global_load_dwordx2 v[17:18], v[17:18], off offset:64
	s_waitcnt vmcnt(2)
	v_mul_f16_sdwa v26, v64, v12 dst_sel:DWORD dst_unused:UNUSED_PAD src0_sel:DWORD src1_sel:WORD_1
	v_mul_f16_sdwa v61, v22, v12 dst_sel:DWORD dst_unused:UNUSED_PAD src0_sel:DWORD src1_sel:WORD_1
	;; [unrolled: 1-line block ×3, first 2 shown]
	s_waitcnt vmcnt(0)
	v_mul_f16_sdwa v82, v74, v18 dst_sel:DWORD dst_unused:UNUSED_PAD src0_sel:DWORD src1_sel:WORD_1
	v_mul_f16_sdwa v53, v73, v18 dst_sel:DWORD dst_unused:UNUSED_PAD src0_sel:DWORD src1_sel:WORD_1
	;; [unrolled: 1-line block ×5, first 2 shown]
	v_fma_f16 v67, v22, v12, -v26
	v_fmac_f16_e32 v61, v64, v12
	v_fma_f16 v66, v28, v13, -v66
	v_fma_f16 v28, v73, v18, -v82
	v_fmac_f16_e32 v53, v74, v18
	v_mul_f16_sdwa v75, v62, v14 dst_sel:DWORD dst_unused:UNUSED_PAD src0_sel:DWORD src1_sel:WORD_1
	v_mul_f16_sdwa v59, v29, v14 dst_sel:DWORD dst_unused:UNUSED_PAD src0_sel:DWORD src1_sel:WORD_1
	;; [unrolled: 1-line block ×6, first 2 shown]
	v_fmac_f16_e32 v60, v65, v13
	v_fma_f16 v27, v27, v17, -v81
	v_fmac_f16_e32 v52, v69, v17
	v_sub_f16_e32 v85, v67, v28
	v_sub_f16_e32 v87, v61, v53
	v_mul_f16_sdwa v76, v63, v15 dst_sel:DWORD dst_unused:UNUSED_PAD src0_sel:DWORD src1_sel:WORD_1
	v_mul_f16_sdwa v58, v24, v15 dst_sel:DWORD dst_unused:UNUSED_PAD src0_sel:DWORD src1_sel:WORD_1
	;; [unrolled: 1-line block ×5, first 2 shown]
	v_fma_f16 v65, v29, v14, -v75
	v_fmac_f16_e32 v59, v62, v14
	v_fma_f16 v62, v30, v9, -v78
	v_fma_f16 v30, v31, v10, -v79
	;; [unrolled: 1-line block ×3, first 2 shown]
	v_fmac_f16_e32 v54, v68, v11
	v_add_f16_e32 v74, v67, v28
	v_add_f16_e32 v93, v61, v53
	v_sub_f16_e32 v86, v66, v27
	v_sub_f16_e32 v88, v60, v52
	v_mul_f16_e32 v79, 0xb853, v87
	v_mul_f16_e32 v83, 0xb853, v85
	v_mul_f16_sdwa v57, v25, v8 dst_sel:DWORD dst_unused:UNUSED_PAD src0_sel:DWORD src1_sel:WORD_1
	v_fma_f16 v64, v24, v15, -v76
	v_fmac_f16_e32 v58, v63, v15
	v_fma_f16 v63, v25, v8, -v77
	v_fmac_f16_e32 v55, v71, v10
	v_add_f16_e32 v31, v66, v27
	v_add_f16_e32 v94, v60, v52
	v_sub_f16_e32 v84, v65, v29
	v_sub_f16_e32 v89, v59, v54
	v_mul_f16_e32 v77, 0xbb47, v88
	v_mul_f16_e32 v80, 0xbb47, v86
	v_fmamk_f16 v22, v74, 0x3abb, v79
	v_fma_f16 v23, v93, 0x3abb, -v83
	v_fmac_f16_e32 v57, v72, v8
	v_fmac_f16_e32 v56, v70, v9
	v_add_f16_e32 v68, v65, v29
	v_add_f16_e32 v92, v59, v54
	v_sub_f16_e32 v90, v58, v55
	v_sub_f16_e32 v81, v64, v30
	v_mul_f16_e32 v73, 0xbbeb, v89
	v_mul_f16_e32 v76, 0xbbeb, v84
	v_fmamk_f16 v24, v31, 0x36a6, v77
	v_fma_f16 v25, v94, 0x36a6, -v80
	v_add_f16_e32 v22, v21, v22
	v_add_f16_e32 v23, v51, v23
	;; [unrolled: 1-line block ×4, first 2 shown]
	v_sub_f16_e32 v91, v57, v56
	v_sub_f16_e32 v82, v63, v62
	v_mul_f16_e32 v71, 0xba0c, v90
	v_mul_f16_e32 v75, 0xba0c, v81
	v_fmamk_f16 v26, v68, 0xb08e, v73
	v_fma_f16 v97, v92, 0xb08e, -v76
	v_add_f16_e32 v22, v24, v22
	v_add_f16_e32 v23, v25, v23
	;; [unrolled: 1-line block ×4, first 2 shown]
	v_mul_f16_e32 v72, 0xb482, v91
	v_mul_f16_e32 v78, 0xb482, v82
	v_fmamk_f16 v24, v70, 0xb93d, v71
	v_fma_f16 v25, v95, 0xb93d, -v75
	v_add_f16_e32 v22, v26, v22
	v_add_f16_e32 v23, v97, v23
	v_fmamk_f16 v97, v69, 0xbbad, v72
	v_fma_f16 v98, v96, 0xbbad, -v78
	v_add_nc_u32_e32 v26, 0xb0, v50
	v_add_f16_e32 v22, v24, v22
	v_add_f16_e32 v23, v25, v23
	v_add_nc_u32_e32 v24, 0x108, v50
	v_add_nc_u32_e32 v25, 0x160, v50
	v_add_f16_e32 v22, v97, v22
	v_add_f16_e32 v23, v98, v23
	s_and_saveexec_b32 s0, vcc_lo
	s_cbranch_execz .LBB0_5
; %bb.4:
	v_mul_f16_e32 v108, 0xbb47, v87
	v_mul_f16_e32 v113, 0xba0c, v88
	;; [unrolled: 1-line block ×5, first 2 shown]
	v_fmamk_f16 v112, v74, 0x36a6, v108
	v_fmamk_f16 v115, v31, 0xb93d, v113
	;; [unrolled: 1-line block ×3, first 2 shown]
	v_mul_f16_e32 v118, 0x3beb, v90
	v_fmamk_f16 v109, v86, 0x3a0c, v105
	v_add_f16_e32 v112, v21, v112
	v_mul_f16_e32 v110, 0xbbad, v92
	v_add_f16_e32 v104, v51, v104
	v_mul_f16_e32 v120, 0x3853, v91
	v_mul_f16_e32 v114, 0xb08e, v95
	v_add_f16_e32 v112, v115, v112
	v_fmamk_f16 v115, v68, 0xbbad, v116
	v_add_f16_e32 v104, v109, v104
	v_fmamk_f16 v109, v84, 0xb482, v110
	v_mul_f16_e32 v122, 0xbbeb, v87
	v_mul_f16_e32 v117, 0x3abb, v96
	v_add_f16_e32 v112, v115, v112
	v_fmamk_f16 v115, v70, 0xb08e, v118
	v_add_f16_e32 v104, v109, v104
	v_fmamk_f16 v109, v81, 0xbbeb, v114
	;; [unrolled: 6-line block ×3, first 2 shown]
	v_fmamk_f16 v127, v31, 0xbbad, v125
	v_mul_f16_e32 v128, 0x3b47, v89
	v_add_f16_e32 v112, v115, v112
	v_fmamk_f16 v115, v74, 0xb08e, v122
	v_add_f16_e32 v104, v109, v104
	v_fmamk_f16 v109, v85, 0x3beb, v119
	v_mul_f16_e32 v121, 0xbbad, v94
	v_mul_f16_e32 v130, 0xb853, v90
	v_add_f16_e32 v115, v21, v115
	v_mul_f16_e32 v124, 0x36a6, v92
	v_add_f16_e32 v109, v51, v109
	v_fmamk_f16 v123, v86, 0xb482, v121
	v_mul_f16_e32 v132, 0xba0c, v91
	v_add_f16_e32 v115, v127, v115
	v_fmamk_f16 v127, v68, 0x36a6, v128
	v_mul_f16_e32 v126, 0x3abb, v95
	v_add_f16_e32 v109, v123, v109
	v_fmamk_f16 v123, v84, 0xbb47, v124
	v_mul_f16_e32 v134, 0xba0c, v87
	v_add_f16_e32 v115, v127, v115
	v_fmamk_f16 v127, v70, 0x3abb, v130
	v_mul_f16_e32 v129, 0xb93d, v96
	v_add_f16_e32 v109, v123, v109
	v_fmamk_f16 v123, v81, 0x3853, v126
	v_mul_f16_e32 v137, 0x3beb, v88
	v_add_f16_e32 v115, v127, v115
	v_fmamk_f16 v127, v69, 0xb93d, v132
	v_mul_f16_e32 v131, 0xb93d, v93
	v_add_f16_e32 v109, v123, v109
	v_fmamk_f16 v123, v82, 0x3a0c, v129
	v_fmamk_f16 v139, v31, 0xb08e, v137
	v_add_f16_e32 v115, v127, v115
	v_fmamk_f16 v127, v74, 0xb93d, v134
	v_mul_f16_e32 v140, 0xb853, v89
	v_add_f16_e32 v109, v123, v109
	v_fmamk_f16 v123, v85, 0x3a0c, v131
	v_mul_f16_e32 v133, 0xb08e, v94
	v_add_f16_e32 v127, v21, v127
	v_mul_f16_e32 v142, 0xb482, v90
	v_mul_f16_e32 v136, 0x3abb, v92
	v_add_f16_e32 v123, v51, v123
	v_fmamk_f16 v135, v86, 0xbbeb, v133
	v_add_f16_e32 v127, v139, v127
	v_fmamk_f16 v139, v68, 0x3abb, v140
	v_mul_f16_e32 v143, 0x3b47, v91
	v_mul_f16_e32 v138, 0xbbad, v95
	v_add_f16_e32 v123, v135, v123
	v_fmamk_f16 v135, v84, 0x3853, v136
	v_add_f16_e32 v127, v139, v127
	v_fmamk_f16 v139, v70, 0xbbad, v142
	;; [unrolled: 6-line block ×4, first 2 shown]
	v_mul_f16_e32 v93, 0xbbad, v93
	v_fmamk_f16 v145, v31, 0x3abb, v88
	v_mul_f16_e32 v89, 0xba0c, v89
	v_mul_f16_e32 v100, 0x36a6, v94
	v_add_f16_e32 v139, v21, v139
	v_add_f16_e32 v123, v135, v123
	v_fmamk_f16 v135, v85, 0x3482, v93
	v_mul_f16_e32 v94, 0x3abb, v94
	v_mul_f16_e32 v90, 0x3b47, v90
	v_add_f16_e32 v139, v145, v139
	v_fmamk_f16 v145, v68, 0xb93d, v89
	v_fmac_f16_e32 v93, 0xb482, v85
	v_fma_f16 v87, v74, 0xbbad, -v87
	v_mul_f16_e32 v102, 0xb08e, v92
	v_add_f16_e32 v135, v51, v135
	v_fmamk_f16 v144, v86, 0xb853, v94
	v_mul_f16_e32 v92, 0xb93d, v92
	v_add_f16_e32 v139, v145, v139
	v_fmamk_f16 v145, v70, 0x36a6, v90
	v_add_f16_e32 v93, v51, v93
	v_fmac_f16_e32 v94, 0x3853, v86
	v_mul_f16_e32 v91, 0xbbeb, v91
	v_add_f16_e32 v87, v21, v87
	v_fma_f16 v88, v31, 0x3abb, -v88
	v_fmac_f16_e32 v131, 0xba0c, v85
	v_mul_f16_e32 v106, 0xb93d, v95
	v_add_f16_e32 v135, v144, v135
	v_fmamk_f16 v144, v84, 0x3a0c, v92
	v_mul_f16_e32 v95, 0x36a6, v95
	v_add_f16_e32 v139, v145, v139
	v_add_f16_e32 v93, v94, v93
	v_fmac_f16_e32 v92, 0xba0c, v84
	v_fmamk_f16 v94, v69, 0xb08e, v91
	v_add_f16_e32 v87, v88, v87
	v_fma_f16 v88, v68, 0xb93d, -v89
	v_add_f16_e32 v89, v51, v131
	v_fmac_f16_e32 v133, 0x3beb, v86
	v_mul_f16_e32 v50, 0x3abb, v74
	v_add_f16_e32 v135, v144, v135
	v_fmamk_f16 v144, v81, 0xbb47, v95
	v_add_f16_e32 v92, v92, v93
	v_fmac_f16_e32 v95, 0x3b47, v81
	v_add_f16_e32 v93, v94, v139
	v_add_f16_e32 v87, v88, v87
	v_fma_f16 v88, v70, 0x36a6, -v90
	v_add_f16_e32 v89, v133, v89
	v_fmac_f16_e32 v136, 0xb853, v84
	v_fma_f16 v90, v74, 0xb93d, -v134
	v_fma_f16 v94, v74, 0xb08e, -v122
	;; [unrolled: 1-line block ×3, first 2 shown]
	v_add_f16_e32 v67, v21, v67
	v_add_f16_e32 v61, v51, v61
	v_mul_f16_e32 v98, 0x36a6, v31
	v_add_f16_e32 v92, v95, v92
	v_add_f16_e32 v87, v88, v87
	v_fma_f16 v88, v69, 0xb08e, -v91
	v_add_f16_e32 v89, v136, v89
	v_fmac_f16_e32 v138, 0xb482, v81
	v_add_f16_e32 v90, v21, v90
	v_fma_f16 v91, v31, 0xb08e, -v137
	v_fmac_f16_e32 v119, 0xbbeb, v85
	v_fma_f16 v95, v31, 0xbbad, -v125
	v_add_f16_e32 v74, v21, v74
	v_fma_f16 v31, v31, 0xb93d, -v113
	v_add_f16_e32 v66, v67, v66
	v_add_f16_e32 v60, v61, v60
	v_add_f16_e32 v87, v88, v87
	v_add_f16_e32 v88, v138, v89
	v_add_f16_e32 v89, v91, v90
	v_fma_f16 v90, v68, 0x3abb, -v140
	v_add_f16_e32 v91, v51, v119
	v_fmac_f16_e32 v121, 0x3482, v86
	v_add_f16_e32 v31, v31, v74
	v_fma_f16 v61, v68, 0xbbad, -v116
	v_add_f16_e32 v65, v66, v65
	v_add_f16_e32 v59, v60, v59
	;; [unrolled: 1-line block ×3, first 2 shown]
	v_fma_f16 v90, v70, 0xbbad, -v142
	v_add_f16_e32 v91, v121, v91
	v_fmac_f16_e32 v124, 0x3b47, v84
	v_add_f16_e32 v94, v21, v94
	v_add_f16_e32 v31, v61, v31
	v_fma_f16 v61, v70, 0xb08e, -v118
	v_add_f16_e32 v64, v65, v64
	v_add_f16_e32 v58, v59, v58
	;; [unrolled: 1-line block ×4, first 2 shown]
	v_fmac_f16_e32 v126, 0xb853, v81
	v_add_f16_e32 v91, v95, v94
	v_fma_f16 v94, v68, 0x36a6, -v128
	v_fmac_f16_e32 v99, 0xbb47, v85
	v_add_f16_e32 v59, v83, v97
	v_add_f16_e32 v31, v61, v31
	;; [unrolled: 1-line block ×7, first 2 shown]
	v_sub_f16_e32 v50, v50, v79
	v_add_f16_e32 v51, v51, v59
	v_add_f16_e32 v59, v61, v62
	v_add_f16_e32 v56, v57, v56
	v_mul_f16_e32 v101, 0xb08e, v68
	v_fma_f16 v95, v69, 0x36a6, -v143
	v_fma_f16 v91, v70, 0x3abb, -v130
	v_fmac_f16_e32 v105, 0xba0c, v86
	v_add_f16_e32 v58, v80, v100
	v_add_f16_e32 v21, v21, v50
	v_sub_f16_e32 v50, v98, v77
	v_add_f16_e32 v30, v59, v30
	v_add_f16_e32 v55, v56, v55
	v_mul_f16_e32 v103, 0xb93d, v70
	v_add_f16_e32 v86, v95, v89
	v_add_f16_e32 v89, v91, v90
	;; [unrolled: 1-line block ×3, first 2 shown]
	v_fmac_f16_e32 v110, 0x3482, v84
	v_add_f16_e32 v51, v58, v51
	v_add_f16_e32 v56, v76, v102
	;; [unrolled: 1-line block ×3, first 2 shown]
	v_sub_f16_e32 v50, v101, v73
	v_add_f16_e32 v29, v30, v29
	v_add_f16_e32 v30, v55, v54
	v_mul_f16_e32 v107, 0xbbad, v69
	v_mul_f16_e32 v111, 0xbbad, v96
	v_add_f16_e32 v84, v110, v90
	v_fmac_f16_e32 v114, 0x3beb, v81
	v_add_f16_e32 v51, v56, v51
	v_add_f16_e32 v54, v75, v106
	;; [unrolled: 1-line block ×5, first 2 shown]
	v_sub_f16_e32 v30, v103, v71
	v_mul_f16_e32 v96, 0xb08e, v96
	v_add_f16_e32 v60, v114, v84
	v_fmac_f16_e32 v117, 0x3853, v82
	v_add_f16_e32 v50, v54, v51
	v_add_f16_e32 v51, v78, v111
	;; [unrolled: 1-line block ×5, first 2 shown]
	v_sub_f16_e32 v29, v107, v72
	v_fma_f16 v30, v69, 0x3abb, -v120
	v_fmac_f16_e32 v141, 0x3b47, v82
	v_fmac_f16_e32 v129, 0xba0c, v82
	v_fma_f16 v67, v69, 0xb93d, -v132
	v_add_f16_e32 v135, v144, v135
	v_fmamk_f16 v144, v82, 0x3beb, v96
	v_fmac_f16_e32 v96, 0xbbeb, v82
	v_add_f16_e32 v52, v117, v60
	v_pack_b32_f16 v27, v27, v28
	v_add_f16_e32 v28, v51, v50
	v_add_f16_e32 v21, v29, v21
	;; [unrolled: 1-line block ×8, first 2 shown]
	ds_write_b32 v36, v27
	v_lshl_add_u32 v27, v40, 2, v44
	v_pack_b32_f16 v21, v21, v28
	v_pack_b32_f16 v28, v29, v52
	;; [unrolled: 1-line block ×9, first 2 shown]
	v_perm_b32 v54, v23, v22, 0x5040100
	ds_write2_b32 v27, v21, v28 offset0:10 offset1:20
	ds_write2_b32 v27, v29, v30 offset0:30 offset1:40
	;; [unrolled: 1-line block ×5, first 2 shown]
.LBB0_5:
	s_or_b32 exec_lo, exec_lo, s0
	s_add_u32 s0, s12, 0x1b8
	s_addc_u32 s1, s13, 0
	s_waitcnt lgkmcnt(0)
	s_barrier
	buffer_gl0_inv
	s_clause 0x9
	global_load_dword v21, v[19:20], off offset:440
	global_load_dword v31, v45, s[0:1] offset:220
	global_load_dword v54, v45, s[0:1] offset:44
	;; [unrolled: 1-line block ×9, first 2 shown]
	ds_read2_b32 v[19:20], v36 offset1:11
	ds_read2_b32 v[27:28], v36 offset0:44 offset1:55
	ds_read2_b32 v[29:30], v36 offset0:66 offset1:77
	;; [unrolled: 1-line block ×4, first 2 shown]
	s_waitcnt lgkmcnt(4)
	v_lshrrev_b32_e32 v61, 16, v19
	v_lshrrev_b32_e32 v63, 16, v20
	s_waitcnt lgkmcnt(3)
	v_lshrrev_b32_e32 v62, 16, v28
	s_waitcnt lgkmcnt(2)
	v_lshrrev_b32_e32 v64, 16, v29
	v_lshrrev_b32_e32 v66, 16, v30
	s_waitcnt lgkmcnt(1)
	v_lshrrev_b32_e32 v65, 16, v50
	v_lshrrev_b32_e32 v67, 16, v51
	;; [unrolled: 1-line block ×3, first 2 shown]
	s_waitcnt lgkmcnt(0)
	v_lshrrev_b32_e32 v68, 16, v52
	v_lshrrev_b32_e32 v70, 16, v53
	s_waitcnt vmcnt(9)
	v_mul_f16_sdwa v71, v61, v21 dst_sel:DWORD dst_unused:UNUSED_PAD src0_sel:DWORD src1_sel:WORD_1
	v_mul_f16_sdwa v72, v19, v21 dst_sel:DWORD dst_unused:UNUSED_PAD src0_sel:DWORD src1_sel:WORD_1
	s_waitcnt vmcnt(7)
	v_mul_f16_sdwa v75, v63, v54 dst_sel:DWORD dst_unused:UNUSED_PAD src0_sel:DWORD src1_sel:WORD_1
	v_mul_f16_sdwa v76, v20, v54 dst_sel:DWORD dst_unused:UNUSED_PAD src0_sel:DWORD src1_sel:WORD_1
	;; [unrolled: 1-line block ×3, first 2 shown]
	s_waitcnt vmcnt(6)
	v_mul_f16_sdwa v77, v64, v55 dst_sel:DWORD dst_unused:UNUSED_PAD src0_sel:DWORD src1_sel:WORD_1
	v_mul_f16_sdwa v78, v29, v55 dst_sel:DWORD dst_unused:UNUSED_PAD src0_sel:DWORD src1_sel:WORD_1
	s_waitcnt vmcnt(4)
	v_mul_f16_sdwa v81, v66, v57 dst_sel:DWORD dst_unused:UNUSED_PAD src0_sel:DWORD src1_sel:WORD_1
	v_mul_f16_sdwa v82, v30, v57 dst_sel:DWORD dst_unused:UNUSED_PAD src0_sel:DWORD src1_sel:WORD_1
	;; [unrolled: 1-line block ×5, first 2 shown]
	s_waitcnt vmcnt(3)
	v_mul_f16_sdwa v83, v67, v58 dst_sel:DWORD dst_unused:UNUSED_PAD src0_sel:DWORD src1_sel:WORD_1
	v_mul_f16_sdwa v84, v51, v58 dst_sel:DWORD dst_unused:UNUSED_PAD src0_sel:DWORD src1_sel:WORD_1
	s_waitcnt vmcnt(1)
	v_mul_f16_sdwa v87, v69, v60 dst_sel:DWORD dst_unused:UNUSED_PAD src0_sel:DWORD src1_sel:WORD_1
	v_mul_f16_sdwa v88, v27, v60 dst_sel:DWORD dst_unused:UNUSED_PAD src0_sel:DWORD src1_sel:WORD_1
	v_mul_f16_sdwa v85, v68, v59 dst_sel:DWORD dst_unused:UNUSED_PAD src0_sel:DWORD src1_sel:WORD_1
	v_mul_f16_sdwa v86, v52, v59 dst_sel:DWORD dst_unused:UNUSED_PAD src0_sel:DWORD src1_sel:WORD_1
	s_waitcnt vmcnt(0)
	v_mul_f16_sdwa v89, v70, v45 dst_sel:DWORD dst_unused:UNUSED_PAD src0_sel:DWORD src1_sel:WORD_1
	v_mul_f16_sdwa v90, v53, v45 dst_sel:DWORD dst_unused:UNUSED_PAD src0_sel:DWORD src1_sel:WORD_1
	v_fma_f16 v19, v19, v21, -v71
	v_fmac_f16_e32 v72, v61, v21
	v_fma_f16 v20, v20, v54, -v75
	v_fmac_f16_e32 v76, v63, v54
	v_fma_f16 v21, v28, v31, -v73
	v_fma_f16 v28, v29, v55, -v77
	v_fmac_f16_e32 v78, v64, v55
	v_fma_f16 v30, v30, v57, -v81
	v_fmac_f16_e32 v82, v66, v57
	v_fmac_f16_e32 v74, v62, v31
	v_fma_f16 v29, v50, v56, -v79
	v_fmac_f16_e32 v80, v65, v56
	v_fma_f16 v31, v51, v58, -v83
	;; [unrolled: 2-line block ×5, first 2 shown]
	v_fmac_f16_e32 v90, v70, v45
	v_pack_b32_f16 v19, v19, v72
	v_pack_b32_f16 v20, v20, v76
	v_pack_b32_f16 v28, v28, v78
	v_pack_b32_f16 v30, v30, v82
	v_pack_b32_f16 v29, v29, v80
	v_pack_b32_f16 v31, v31, v84
	v_pack_b32_f16 v21, v21, v74
	v_pack_b32_f16 v27, v27, v88
	v_pack_b32_f16 v45, v50, v86
	v_pack_b32_f16 v50, v51, v90
	ds_write2_b32 v36, v19, v20 offset1:11
	ds_write2_b32 v36, v28, v30 offset0:66 offset1:77
	ds_write2_b32 v36, v29, v31 offset0:22 offset1:33
	;; [unrolled: 1-line block ×4, first 2 shown]
	s_waitcnt lgkmcnt(0)
	s_barrier
	buffer_gl0_inv
	ds_read2_b32 v[19:20], v36 offset1:11
	ds_read2_b32 v[27:28], v36 offset0:44 offset1:55
	ds_read2_b32 v[29:30], v36 offset0:66 offset1:77
	;; [unrolled: 1-line block ×4, first 2 shown]
	s_waitcnt lgkmcnt(0)
	s_barrier
	buffer_gl0_inv
	v_pk_add_f16 v31, v19, v28 neg_lo:[0,1] neg_hi:[0,1]
	v_pk_add_f16 v21, v20, v29 neg_lo:[0,1] neg_hi:[0,1]
	v_pk_add_f16 v29, v50, v30 neg_lo:[0,1] neg_hi:[0,1]
	v_pk_add_f16 v52, v51, v52 neg_lo:[0,1] neg_hi:[0,1]
	v_pk_add_f16 v54, v27, v53 neg_lo:[0,1] neg_hi:[0,1]
	v_pk_fma_f16 v30, v19, 2.0, v31 op_sel_hi:[1,0,1] neg_lo:[0,0,1] neg_hi:[0,0,1]
	v_pk_fma_f16 v20, v20, 2.0, v21 op_sel_hi:[1,0,1] neg_lo:[0,0,1] neg_hi:[0,0,1]
	;; [unrolled: 1-line block ×5, first 2 shown]
	ds_write_b64 v47, v[30:31]
	ds_write_b64 v46, v[20:21]
	;; [unrolled: 1-line block ×5, first 2 shown]
	s_waitcnt lgkmcnt(0)
	s_barrier
	buffer_gl0_inv
	ds_read2_b32 v[19:20], v36 offset1:11
	ds_read2_b32 v[27:28], v36 offset0:22 offset1:33
	ds_read2_b32 v[29:30], v36 offset0:44 offset1:55
	;; [unrolled: 1-line block ×4, first 2 shown]
	s_waitcnt lgkmcnt(0)
	s_barrier
	buffer_gl0_inv
	v_lshrrev_b32_e32 v25, 16, v19
	v_lshrrev_b32_e32 v21, 16, v27
	;; [unrolled: 1-line block ×4, first 2 shown]
	v_mul_f16_sdwa v56, v4, v27 dst_sel:DWORD dst_unused:UNUSED_PAD src0_sel:WORD_1 src1_sel:DWORD
	v_mul_f16_sdwa v57, v5, v29 dst_sel:DWORD dst_unused:UNUSED_PAD src0_sel:WORD_1 src1_sel:DWORD
	v_lshrrev_b32_e32 v47, 16, v50
	v_lshrrev_b32_e32 v52, 16, v28
	;; [unrolled: 1-line block ×4, first 2 shown]
	v_mul_f16_sdwa v58, v6, v45 dst_sel:DWORD dst_unused:UNUSED_PAD src0_sel:WORD_1 src1_sel:DWORD
	v_mul_f16_sdwa v59, v7, v50 dst_sel:DWORD dst_unused:UNUSED_PAD src0_sel:WORD_1 src1_sel:DWORD
	;; [unrolled: 1-line block ×3, first 2 shown]
	v_lshrrev_b32_e32 v55, 16, v51
	v_mul_f16_sdwa v61, v1, v30 dst_sel:DWORD dst_unused:UNUSED_PAD src0_sel:WORD_1 src1_sel:DWORD
	v_mul_f16_sdwa v64, v4, v21 dst_sel:DWORD dst_unused:UNUSED_PAD src0_sel:WORD_1 src1_sel:DWORD
	v_fma_f16 v21, v4, v21, -v56
	v_mul_f16_sdwa v56, v5, v24 dst_sel:DWORD dst_unused:UNUSED_PAD src0_sel:WORD_1 src1_sel:DWORD
	v_fma_f16 v24, v5, v24, -v57
	v_mul_f16_sdwa v57, v6, v31 dst_sel:DWORD dst_unused:UNUSED_PAD src0_sel:WORD_1 src1_sel:DWORD
	v_mul_f16_sdwa v65, v7, v47 dst_sel:DWORD dst_unused:UNUSED_PAD src0_sel:WORD_1 src1_sel:DWORD
	;; [unrolled: 1-line block ×3, first 2 shown]
	v_fma_f16 v58, v6, v31, -v58
	v_fma_f16 v47, v7, v47, -v59
	v_mul_f16_sdwa v59, v0, v52 dst_sel:DWORD dst_unused:UNUSED_PAD src0_sel:WORD_1 src1_sel:DWORD
	v_fma_f16 v31, v0, v52, -v60
	v_mul_f16_sdwa v52, v1, v53 dst_sel:DWORD dst_unused:UNUSED_PAD src0_sel:WORD_1 src1_sel:DWORD
	v_mul_f16_sdwa v60, v2, v54 dst_sel:DWORD dst_unused:UNUSED_PAD src0_sel:WORD_1 src1_sel:DWORD
	;; [unrolled: 1-line block ×3, first 2 shown]
	v_fma_f16 v53, v1, v53, -v61
	v_mul_f16_sdwa v61, v3, v55 dst_sel:DWORD dst_unused:UNUSED_PAD src0_sel:WORD_1 src1_sel:DWORD
	v_fmac_f16_e32 v56, v5, v29
	v_fmac_f16_e32 v57, v6, v45
	;; [unrolled: 1-line block ×4, first 2 shown]
	v_lshrrev_b32_e32 v26, 16, v20
	v_fma_f16 v54, v2, v54, -v62
	v_fmac_f16_e32 v52, v1, v30
	v_fmac_f16_e32 v60, v2, v46
	v_sub_f16_e32 v2, v21, v24
	v_sub_f16_e32 v4, v47, v58
	v_fma_f16 v55, v3, v55, -v63
	v_fmac_f16_e32 v59, v0, v28
	v_fmac_f16_e32 v61, v3, v51
	v_add_f16_e32 v0, v25, v21
	v_add_f16_e32 v1, v24, v58
	;; [unrolled: 1-line block ×4, first 2 shown]
	v_sub_f16_e32 v6, v24, v21
	v_sub_f16_e32 v7, v58, v47
	v_add_f16_e32 v70, v64, v65
	v_sub_f16_e32 v3, v21, v47
	v_add_f16_e32 v21, v26, v31
	v_add_f16_e32 v28, v53, v54
	;; [unrolled: 1-line block ×6, first 2 shown]
	v_sub_f16_e32 v50, v24, v58
	v_sub_f16_e32 v29, v31, v53
	;; [unrolled: 1-line block ×5, first 2 shown]
	v_add_f16_e32 v66, v19, v64
	v_add_f16_e32 v0, v0, v24
	v_fma_f16 v27, -0.5, v1, v25
	v_sub_f16_e32 v24, v64, v65
	v_add_f16_e32 v1, v20, v59
	v_fma_f16 v2, -0.5, v67, v19
	v_sub_f16_e32 v68, v64, v56
	v_sub_f16_e32 v71, v56, v64
	;; [unrolled: 1-line block ×3, first 2 shown]
	v_fmac_f16_e32 v25, -0.5, v5
	v_add_f16_e32 v74, v6, v7
	v_sub_f16_e32 v5, v59, v52
	v_sub_f16_e32 v6, v61, v60
	v_fma_f16 v7, -0.5, v70, v19
	v_sub_f16_e32 v51, v31, v55
	v_sub_f16_e32 v62, v53, v54
	;; [unrolled: 1-line block ×3, first 2 shown]
	v_add_f16_e32 v53, v21, v53
	v_fma_f16 v31, -0.5, v28, v26
	v_sub_f16_e32 v59, v59, v61
	v_fma_f16 v21, -0.5, v4, v20
	v_sub_f16_e32 v78, v52, v60
	v_fmac_f16_e32 v26, -0.5, v45
	v_fmac_f16_e32 v20, -0.5, v75
	v_sub_f16_e32 v69, v65, v57
	v_add_f16_e32 v79, v29, v30
	v_add_f16_e32 v63, v46, v63
	v_add_f16_e32 v29, v66, v56
	v_fmamk_f16 v46, v24, 0x3b9c, v27
	v_add_f16_e32 v52, v1, v52
	v_fmamk_f16 v1, v3, 0xbb9c, v2
	v_sub_f16_e32 v72, v57, v65
	v_add_f16_e32 v0, v0, v58
	v_fmamk_f16 v45, v64, 0xbb9c, v25
	v_fmac_f16_e32 v25, 0x3b9c, v64
	v_add_f16_e32 v58, v5, v6
	v_fmamk_f16 v6, v50, 0x3b9c, v7
	v_fmac_f16_e32 v7, 0xbb9c, v50
	v_fmac_f16_e32 v27, 0xbb9c, v24
	;; [unrolled: 1-line block ×3, first 2 shown]
	v_fmamk_f16 v28, v59, 0x3b9c, v31
	v_fmamk_f16 v4, v51, 0xbb9c, v21
	v_sub_f16_e32 v77, v60, v61
	v_fmamk_f16 v30, v78, 0xbb9c, v26
	v_fmac_f16_e32 v26, 0x3b9c, v78
	v_fmamk_f16 v5, v62, 0x3b9c, v20
	v_fmac_f16_e32 v20, 0xbb9c, v62
	v_add_f16_e32 v56, v68, v69
	v_add_f16_e32 v53, v53, v54
	v_fmac_f16_e32 v31, 0xbb9c, v59
	v_add_f16_e32 v54, v29, v57
	v_fmac_f16_e32 v46, 0x38b4, v64
	v_fmac_f16_e32 v21, 0x3b9c, v51
	;; [unrolled: 1-line block ×3, first 2 shown]
	v_add_f16_e32 v66, v71, v72
	v_fmac_f16_e32 v45, 0x38b4, v24
	v_fmac_f16_e32 v25, 0xb8b4, v24
	;; [unrolled: 1-line block ×6, first 2 shown]
	v_add_f16_e32 v24, v52, v60
	v_fmac_f16_e32 v28, 0x38b4, v78
	v_fmac_f16_e32 v4, 0xb8b4, v62
	v_add_f16_e32 v67, v76, v77
	v_fmac_f16_e32 v30, 0x38b4, v59
	v_fmac_f16_e32 v26, 0xb8b4, v59
	;; [unrolled: 1-line block ×4, first 2 shown]
	v_add_f16_e32 v19, v0, v47
	v_fmac_f16_e32 v31, 0xb8b4, v78
	v_add_f16_e32 v0, v54, v65
	v_fmac_f16_e32 v46, 0x34f2, v73
	v_fmac_f16_e32 v21, 0x38b4, v62
	;; [unrolled: 1-line block ×9, first 2 shown]
	v_add_f16_e32 v29, v53, v55
	v_add_f16_e32 v3, v24, v61
	v_fmac_f16_e32 v28, 0x34f2, v79
	v_fmac_f16_e32 v4, 0x34f2, v58
	;; [unrolled: 1-line block ×8, first 2 shown]
	v_pack_b32_f16 v24, v0, v19
	v_pack_b32_f16 v50, v1, v46
	;; [unrolled: 1-line block ×10, first 2 shown]
	ds_write2_b32 v49, v24, v50 offset1:2
	ds_write2_b32 v49, v51, v52 offset0:4 offset1:6
	ds_write_b32 v49, v53 offset:32
	ds_write2_b32 v48, v47, v54 offset1:2
	ds_write2_b32 v48, v55, v56 offset0:4 offset1:6
	ds_write_b32 v48, v57 offset:32
	s_waitcnt lgkmcnt(0)
	s_barrier
	buffer_gl0_inv
	s_and_saveexec_b32 s0, vcc_lo
	s_cbranch_execz .LBB0_7
; %bb.6:
	ds_read2_b32 v[0:1], v36 offset1:10
	ds_read2_b32 v[6:7], v36 offset0:20 offset1:30
	ds_read2_b32 v[2:3], v36 offset0:40 offset1:50
	;; [unrolled: 1-line block ×4, first 2 shown]
	ds_read_b32 v22, v36 offset:400
	s_waitcnt lgkmcnt(5)
	v_lshrrev_b32_e32 v19, 16, v0
	v_lshrrev_b32_e32 v46, 16, v1
	s_waitcnt lgkmcnt(4)
	v_lshrrev_b32_e32 v45, 16, v6
	v_lshrrev_b32_e32 v25, 16, v7
	;; [unrolled: 3-line block ×5, first 2 shown]
	s_waitcnt lgkmcnt(0)
	v_lshrrev_b32_e32 v23, 16, v22
.LBB0_7:
	s_or_b32 exec_lo, exec_lo, s0
	s_and_saveexec_b32 s0, vcc_lo
	s_cbranch_execz .LBB0_9
; %bb.8:
	v_mul_f16_sdwa v24, v18, v23 dst_sel:DWORD dst_unused:UNUSED_PAD src0_sel:WORD_1 src1_sel:DWORD
	v_mul_f16_sdwa v47, v12, v46 dst_sel:DWORD dst_unused:UNUSED_PAD src0_sel:WORD_1 src1_sel:DWORD
	;; [unrolled: 1-line block ×5, first 2 shown]
	v_fmac_f16_e32 v24, v18, v22
	v_mul_f16_sdwa v22, v17, v31 dst_sel:DWORD dst_unused:UNUSED_PAD src0_sel:WORD_1 src1_sel:DWORD
	v_fmac_f16_e32 v47, v12, v1
	v_fma_f16 v1, v18, v23, -v48
	v_fma_f16 v23, v12, v46, -v49
	v_mul_f16_sdwa v46, v13, v6 dst_sel:DWORD dst_unused:UNUSED_PAD src0_sel:WORD_1 src1_sel:DWORD
	v_fmac_f16_e32 v22, v17, v21
	v_mul_f16_sdwa v21, v17, v21 dst_sel:DWORD dst_unused:UNUSED_PAD src0_sel:WORD_1 src1_sel:DWORD
	v_sub_f16_e32 v18, v47, v24
	v_fmac_f16_e32 v50, v13, v6
	v_mul_f16_sdwa v52, v15, v27 dst_sel:DWORD dst_unused:UNUSED_PAD src0_sel:WORD_1 src1_sel:DWORD
	v_mul_f16_sdwa v53, v10, v30 dst_sel:DWORD dst_unused:UNUSED_PAD src0_sel:WORD_1 src1_sel:DWORD
	v_fma_f16 v6, v17, v31, -v21
	v_fma_f16 v17, v13, v45, -v46
	v_mul_f16_sdwa v46, v14, v25 dst_sel:DWORD dst_unused:UNUSED_PAD src0_sel:WORD_1 src1_sel:DWORD
	v_mul_f16_sdwa v13, v11, v26 dst_sel:DWORD dst_unused:UNUSED_PAD src0_sel:WORD_1 src1_sel:DWORD
	v_mul_f16_e32 v48, 0xbb47, v18
	v_add_f16_e32 v49, v1, v23
	v_sub_f16_e32 v12, v50, v22
	v_fmac_f16_e32 v46, v14, v7
	v_fmac_f16_e32 v13, v11, v20
	v_mul_f16_sdwa v20, v11, v20 dst_sel:DWORD dst_unused:UNUSED_PAD src0_sel:WORD_1 src1_sel:DWORD
	v_mul_f16_sdwa v7, v14, v7 dst_sel:DWORD dst_unused:UNUSED_PAD src0_sel:WORD_1 src1_sel:DWORD
	v_fmac_f16_e32 v52, v15, v2
	v_fmac_f16_e32 v53, v10, v5
	v_mul_f16_sdwa v5, v10, v5 dst_sel:DWORD dst_unused:UNUSED_PAD src0_sel:WORD_1 src1_sel:DWORD
	v_mul_f16_sdwa v2, v15, v2 dst_sel:DWORD dst_unused:UNUSED_PAD src0_sel:WORD_1 src1_sel:DWORD
	v_fmamk_f16 v21, v49, 0x36a6, v48
	v_mul_f16_e32 v31, 0xba0c, v12
	v_add_f16_e32 v45, v6, v17
	v_sub_f16_e32 v54, v46, v13
	v_fma_f16 v11, v11, v26, -v20
	v_fma_f16 v7, v14, v25, -v7
	;; [unrolled: 1-line block ×4, first 2 shown]
	v_mul_f16_sdwa v27, v8, v29 dst_sel:DWORD dst_unused:UNUSED_PAD src0_sel:WORD_1 src1_sel:DWORD
	v_mul_f16_sdwa v30, v9, v28 dst_sel:DWORD dst_unused:UNUSED_PAD src0_sel:WORD_1 src1_sel:DWORD
	v_add_f16_e32 v21, v19, v21
	v_fmamk_f16 v51, v45, 0xb93d, v31
	v_mul_f16_e32 v14, 0x3482, v54
	v_add_f16_e32 v20, v11, v7
	v_sub_f16_e32 v25, v52, v53
	v_fmac_f16_e32 v27, v8, v3
	v_fmac_f16_e32 v30, v9, v4
	v_mul_f16_sdwa v4, v9, v4 dst_sel:DWORD dst_unused:UNUSED_PAD src0_sel:WORD_1 src1_sel:DWORD
	v_mul_f16_sdwa v3, v8, v3 dst_sel:DWORD dst_unused:UNUSED_PAD src0_sel:WORD_1 src1_sel:DWORD
	v_add_f16_e32 v10, v51, v21
	v_fmamk_f16 v15, v20, 0xbbad, v14
	v_mul_f16_e32 v21, 0x3beb, v25
	v_add_f16_e32 v26, v5, v2
	v_sub_f16_e32 v56, v27, v30
	v_fma_f16 v4, v9, v28, -v4
	v_fma_f16 v3, v8, v29, -v3
	v_add_f16_e32 v10, v15, v10
	v_fmamk_f16 v15, v26, 0xb08e, v21
	v_mul_f16_e32 v29, 0x3853, v56
	v_add_f16_e32 v51, v24, v47
	v_add_f16_e32 v59, v4, v3
	v_sub_f16_e32 v57, v17, v6
	v_add_f16_e32 v10, v15, v10
	v_sub_f16_e32 v15, v23, v1
	v_add_f16_e32 v9, v22, v50
	v_fmamk_f16 v63, v59, 0x3abb, v29
	v_mul_f16_e32 v28, 0xba0c, v57
	v_sub_f16_e32 v58, v7, v11
	v_mul_f16_e32 v55, 0xbb47, v15
	v_mul_f16_e32 v68, 0x3482, v12
	v_add_f16_e32 v10, v63, v10
	v_mul_f16_e32 v63, 0xbbeb, v18
	v_fma_f16 v60, v9, 0xb93d, -v28
	v_fma_f16 v8, v51, 0x36a6, -v55
	v_add_f16_e32 v61, v13, v46
	v_mul_f16_e32 v62, 0x3482, v58
	v_fmamk_f16 v67, v49, 0xb08e, v63
	v_fmamk_f16 v72, v45, 0xbbad, v68
	v_add_f16_e32 v8, v0, v8
	v_mul_f16_e32 v73, 0x3b47, v54
	v_fma_f16 v64, v61, 0xbbad, -v62
	v_add_f16_e32 v67, v19, v67
	v_mul_f16_e32 v75, 0xb853, v25
	v_add_f16_e32 v8, v60, v8
	v_sub_f16_e32 v60, v2, v5
	v_add_f16_e32 v65, v53, v52
	v_add_f16_e32 v67, v72, v67
	v_fmamk_f16 v72, v20, 0x36a6, v73
	v_add_f16_e32 v8, v64, v8
	v_mul_f16_e32 v66, 0x3beb, v60
	v_sub_f16_e32 v64, v3, v4
	v_mul_f16_e32 v77, 0xba0c, v56
	v_add_f16_e32 v67, v72, v67
	v_fmamk_f16 v72, v26, 0x3abb, v75
	v_fma_f16 v69, v65, 0xb08e, -v66
	v_add_f16_e32 v70, v30, v27
	v_mul_f16_e32 v71, 0x3853, v64
	v_mul_f16_e32 v80, 0xba0c, v18
	v_add_f16_e32 v67, v72, v67
	v_fmamk_f16 v72, v59, 0xb93d, v77
	v_add_f16_e32 v8, v69, v8
	v_fma_f16 v69, v70, 0x3abb, -v71
	v_mul_f16_e32 v74, 0xbbeb, v15
	v_mul_f16_e32 v82, 0x3beb, v12
	v_add_f16_e32 v67, v72, v67
	v_fmamk_f16 v72, v49, 0xb93d, v80
	v_add_f16_e32 v8, v69, v8
	v_fma_f16 v69, v51, 0xb08e, -v74
	v_mul_f16_e32 v76, 0x3482, v57
	v_fmamk_f16 v84, v45, 0xb08e, v82
	v_add_f16_e32 v72, v19, v72
	v_mul_f16_e32 v85, 0xb853, v54
	v_add_f16_e32 v69, v0, v69
	v_fma_f16 v78, v9, 0xbbad, -v76
	v_mul_f16_e32 v79, 0x3b47, v58
	v_add_f16_e32 v72, v84, v72
	v_fmamk_f16 v84, v20, 0x3abb, v85
	v_mul_f16_e32 v87, 0xb482, v25
	v_fma_f16 v48, v49, 0x36a6, -v48
	v_add_f16_e32 v69, v78, v69
	v_fma_f16 v78, v61, 0x36a6, -v79
	v_mul_f16_e32 v81, 0xb853, v60
	v_add_f16_e32 v72, v84, v72
	v_fmamk_f16 v84, v26, 0xbbad, v87
	v_mul_f16_e32 v89, 0x3b47, v56
	v_add_f16_e32 v48, v19, v48
	v_fma_f16 v31, v45, 0xb93d, -v31
	v_add_f16_e32 v69, v78, v69
	v_fma_f16 v78, v65, 0x3abb, -v81
	v_mul_f16_e32 v83, 0xba0c, v64
	v_add_f16_e32 v72, v84, v72
	v_fmamk_f16 v84, v59, 0x36a6, v89
	v_mul_f16_e32 v92, 0xb482, v18
	v_fmac_f16_e32 v55, 0x36a6, v51
	v_add_f16_e32 v31, v31, v48
	v_fma_f16 v14, v20, 0xbbad, -v14
	v_add_f16_e32 v69, v78, v69
	v_fma_f16 v78, v70, 0xb93d, -v83
	v_mul_f16_e32 v86, 0xba0c, v15
	v_add_f16_e32 v72, v84, v72
	v_fmamk_f16 v84, v49, 0xbbad, v92
	v_mul_f16_e32 v94, 0x3853, v12
	v_fma_f16 v92, v49, 0xbbad, -v92
	v_fma_f16 v80, v49, 0xb93d, -v80
	;; [unrolled: 1-line block ×3, first 2 shown]
	v_add_f16_e32 v55, v0, v55
	v_fmac_f16_e32 v28, 0xb93d, v9
	v_add_f16_e32 v14, v14, v31
	v_mul_f16_e32 v31, 0x3abb, v49
	v_add_f16_e32 v69, v78, v69
	v_fma_f16 v78, v51, 0xb93d, -v86
	v_mul_f16_e32 v88, 0x3beb, v57
	v_add_f16_e32 v84, v19, v84
	v_fmamk_f16 v96, v45, 0x3abb, v94
	v_mul_f16_e32 v97, 0xba0c, v54
	v_add_f16_e32 v92, v19, v92
	v_fma_f16 v94, v45, 0x3abb, -v94
	v_add_f16_e32 v80, v19, v80
	v_fma_f16 v82, v45, 0xb08e, -v82
	v_add_f16_e32 v63, v19, v63
	v_fma_f16 v68, v45, 0xbbad, -v68
	v_fma_f16 v21, v26, 0xb08e, -v21
	v_add_f16_e32 v28, v28, v55
	v_fmac_f16_e32 v62, 0xbbad, v61
	v_fmamk_f16 v49, v18, 0x3853, v31
	v_mul_f16_e32 v45, 0x36a6, v45
	v_add_f16_e32 v78, v0, v78
	v_fma_f16 v90, v9, 0xb08e, -v88
	v_mul_f16_e32 v91, 0xb853, v58
	v_add_f16_e32 v84, v96, v84
	v_fmamk_f16 v96, v20, 0xb93d, v97
	v_add_f16_e32 v92, v94, v92
	v_fma_f16 v94, v20, 0xb93d, -v97
	v_add_f16_e32 v80, v82, v80
	v_fma_f16 v82, v20, 0x3abb, -v85
	;; [unrolled: 2-line block ×3, first 2 shown]
	v_add_f16_e32 v14, v21, v14
	v_add_f16_e32 v21, v62, v28
	;; [unrolled: 1-line block ×3, first 2 shown]
	v_fmamk_f16 v49, v12, 0x3b47, v45
	v_mul_f16_e32 v20, 0xb08e, v20
	v_add_f16_e32 v78, v90, v78
	v_fma_f16 v90, v61, 0x3abb, -v91
	v_mul_f16_e32 v93, 0xb482, v60
	v_mul_f16_e32 v98, 0xb482, v15
	v_fma_f16 v29, v59, 0x3abb, -v29
	v_add_f16_e32 v28, v49, v28
	v_fmamk_f16 v49, v54, 0x3beb, v20
	v_mul_f16_e32 v15, 0xb853, v15
	v_add_f16_e32 v47, v0, v47
	v_add_f16_e32 v23, v23, v19
	;; [unrolled: 1-line block ×3, first 2 shown]
	v_fma_f16 v90, v65, 0xbbad, -v93
	v_mul_f16_e32 v95, 0x3b47, v64
	v_add_f16_e32 v14, v29, v14
	v_add_f16_e32 v28, v49, v28
	v_fmamk_f16 v29, v51, 0x3abb, v15
	v_mul_f16_e32 v49, 0xbb47, v57
	v_add_f16_e32 v47, v50, v47
	v_add_f16_e32 v17, v17, v23
	;; [unrolled: 1-line block ×3, first 2 shown]
	v_fma_f16 v90, v70, 0x36a6, -v95
	v_add_f16_e32 v29, v0, v29
	v_fmamk_f16 v23, v9, 0x36a6, v49
	v_mul_f16_e32 v50, 0xbbeb, v58
	v_add_f16_e32 v46, v46, v47
	v_add_f16_e32 v7, v7, v17
	v_mul_f16_e32 v99, 0x3b47, v25
	v_add_f16_e32 v78, v90, v78
	v_fma_f16 v90, v51, 0xbbad, -v98
	v_mul_f16_e32 v100, 0x3853, v57
	v_add_f16_e32 v17, v23, v29
	v_fmamk_f16 v23, v61, 0xb08e, v50
	v_mul_f16_e32 v29, 0xba0c, v60
	v_add_f16_e32 v46, v52, v46
	v_add_f16_e32 v2, v2, v7
	;; [unrolled: 1-line block ×3, first 2 shown]
	v_fmamk_f16 v96, v26, 0x36a6, v99
	v_mul_f16_e32 v101, 0xbbeb, v56
	v_add_f16_e32 v90, v0, v90
	v_fma_f16 v102, v9, 0x3abb, -v100
	v_mul_f16_e32 v103, 0xba0c, v58
	v_add_f16_e32 v17, v23, v17
	v_fmamk_f16 v23, v65, 0xb93d, v29
	v_add_f16_e32 v27, v27, v46
	v_add_f16_e32 v2, v3, v2
	;; [unrolled: 1-line block ×3, first 2 shown]
	v_fmamk_f16 v96, v59, 0xb08e, v101
	v_add_f16_e32 v90, v102, v90
	v_fma_f16 v102, v61, 0xb93d, -v103
	v_mul_f16_e32 v104, 0x3b47, v60
	v_add_f16_e32 v17, v23, v17
	v_add_f16_e32 v23, v30, v27
	;; [unrolled: 1-line block ×3, first 2 shown]
	v_fmac_f16_e32 v86, 0xb93d, v51
	v_fmac_f16_e32 v74, 0xb08e, v51
	v_add_f16_e32 v84, v96, v84
	v_add_f16_e32 v90, v102, v90
	v_fma_f16 v96, v65, 0x36a6, -v104
	v_mul_f16_e32 v102, 0xbbeb, v64
	v_fmac_f16_e32 v98, 0xbbad, v51
	v_fmac_f16_e32 v31, 0xb853, v18
	v_fma_f16 v15, v51, 0x3abb, -v15
	v_add_f16_e32 v18, v53, v23
	v_add_f16_e32 v2, v5, v2
	;; [unrolled: 1-line block ×3, first 2 shown]
	v_fmac_f16_e32 v88, 0xb08e, v9
	v_add_f16_e32 v74, v0, v74
	v_fmac_f16_e32 v76, 0xbbad, v9
	v_add_f16_e32 v90, v96, v90
	v_fma_f16 v96, v70, 0xb08e, -v102
	v_add_f16_e32 v97, v0, v98
	v_fmac_f16_e32 v100, 0x3abb, v9
	v_add_f16_e32 v5, v19, v31
	v_fmac_f16_e32 v45, 0xbb47, v12
	v_add_f16_e32 v0, v0, v15
	v_fma_f16 v9, v9, 0x36a6, -v49
	v_add_f16_e32 v92, v94, v92
	v_fma_f16 v94, v26, 0x36a6, -v99
	;; [unrolled: 2-line block ×4, first 2 shown]
	v_mul_f16_e32 v26, 0xb93d, v26
	v_add_f16_e32 v12, v13, v18
	v_add_f16_e32 v2, v11, v2
	v_add_f16_e32 v86, v88, v86
	v_fmac_f16_e32 v91, 0x3abb, v61
	v_add_f16_e32 v74, v76, v74
	v_fmac_f16_e32 v79, 0x36a6, v61
	v_add_f16_e32 v90, v96, v90
	v_add_f16_e32 v96, v100, v97
	v_fmac_f16_e32 v103, 0xb93d, v61
	v_add_f16_e32 v5, v45, v5
	v_fmac_f16_e32 v20, 0xbbeb, v54
	v_add_f16_e32 v0, v9, v0
	v_fma_f16 v9, v61, 0xb08e, -v50
	v_fmac_f16_e32 v66, 0xb08e, v65
	v_fmamk_f16 v57, v25, 0x3a0c, v26
	v_mul_f16_e32 v7, 0xbbad, v59
	v_mul_f16_e32 v46, 0xb482, v64
	v_add_f16_e32 v11, v22, v12
	v_add_f16_e32 v2, v6, v2
	;; [unrolled: 1-line block ×3, first 2 shown]
	v_fmac_f16_e32 v93, 0xbbad, v65
	v_add_f16_e32 v63, v68, v63
	v_fma_f16 v68, v59, 0xb93d, -v77
	v_add_f16_e32 v74, v79, v74
	v_fmac_f16_e32 v81, 0x3abb, v65
	v_add_f16_e32 v96, v103, v96
	v_fmac_f16_e32 v104, 0x36a6, v65
	;; [unrolled: 2-line block ×3, first 2 shown]
	v_add_f16_e32 v0, v9, v0
	v_fma_f16 v6, v65, 0xb93d, -v29
	v_add_f16_e32 v21, v66, v21
	v_fmac_f16_e32 v71, 0x3abb, v70
	v_add_f16_e32 v28, v57, v28
	v_fmamk_f16 v3, v56, 0x3482, v7
	v_fmamk_f16 v4, v70, 0xbbad, v46
	v_add_f16_e32 v9, v24, v11
	v_add_f16_e32 v1, v1, v2
	v_add_f16_e32 v80, v82, v80
	v_fma_f16 v82, v59, 0x36a6, -v89
	v_add_f16_e32 v73, v93, v86
	v_fmac_f16_e32 v95, 0x36a6, v70
	v_add_f16_e32 v48, v68, v63
	v_add_f16_e32 v63, v81, v74
	v_fmac_f16_e32 v83, 0xb93d, v70
	v_add_f16_e32 v92, v94, v92
	v_fma_f16 v94, v59, 0xb08e, -v101
	v_add_f16_e32 v85, v104, v96
	v_fmac_f16_e32 v102, 0xb08e, v70
	v_add_f16_e32 v2, v26, v5
	v_fmac_f16_e32 v7, 0xb482, v56
	v_add_f16_e32 v0, v6, v0
	v_fma_f16 v5, v70, 0xbbad, -v46
	v_add_f16_e32 v21, v71, v21
	v_pack_b32_f16 v1, v9, v1
	v_add_f16_e32 v3, v3, v28
	v_add_f16_e32 v4, v4, v17
	v_add_f16_e32 v80, v82, v80
	v_add_f16_e32 v73, v95, v73
	v_add_f16_e32 v55, v83, v63
	v_add_f16_e32 v92, v94, v92
	v_add_f16_e32 v85, v102, v85
	v_add_f16_e32 v2, v7, v2
	v_add_f16_e32 v0, v5, v0
	ds_write_b32 v36, v1
	v_lshl_add_u32 v1, v40, 2, v44
	v_pack_b32_f16 v3, v4, v3
	v_pack_b32_f16 v4, v21, v14
	;; [unrolled: 1-line block ×10, first 2 shown]
	ds_write2_b32 v1, v3, v4 offset0:10 offset1:20
	ds_write2_b32 v1, v5, v6 offset0:30 offset1:40
	;; [unrolled: 1-line block ×5, first 2 shown]
.LBB0_9:
	s_or_b32 exec_lo, exec_lo, s0
	s_waitcnt lgkmcnt(0)
	s_barrier
	buffer_gl0_inv
	ds_read2_b32 v[2:3], v36 offset1:11
	ds_read2_b32 v[0:1], v36 offset0:44 offset1:55
	s_mov_b32 s4, 0x29e4129e
	s_mov_b32 s5, 0x3f829e41
	s_mul_i32 s7, s8, 0xffffff50
	s_waitcnt lgkmcnt(1)
	v_lshrrev_b32_e32 v4, 16, v2
	v_mul_f16_sdwa v5, v43, v2 dst_sel:DWORD dst_unused:UNUSED_PAD src0_sel:WORD_1 src1_sel:DWORD
	s_waitcnt lgkmcnt(0)
	v_lshrrev_b32_e32 v6, 16, v1
	v_mul_f16_sdwa v7, v42, v1 dst_sel:DWORD dst_unused:UNUSED_PAD src0_sel:WORD_1 src1_sel:DWORD
	v_lshrrev_b32_e32 v18, 16, v3
	v_mul_f16_sdwa v9, v43, v4 dst_sel:DWORD dst_unused:UNUSED_PAD src0_sel:WORD_1 src1_sel:DWORD
	v_fma_f16 v8, v43, v4, -v5
	v_mul_f16_sdwa v12, v42, v6 dst_sel:DWORD dst_unused:UNUSED_PAD src0_sel:WORD_1 src1_sel:DWORD
	v_fma_f16 v7, v42, v6, -v7
	v_mad_u64_u32 v[4:5], null, s10, v16, 0
	v_cvt_f32_f16_e32 v8, v8
	v_fmac_f16_e32 v9, v43, v2
	v_cvt_f32_f16_e32 v2, v7
	v_fmac_f16_e32 v12, v42, v1
	v_mul_f16_sdwa v15, v41, v18 dst_sel:DWORD dst_unused:UNUSED_PAD src0_sel:WORD_1 src1_sel:DWORD
	v_cvt_f64_f32_e32 v[6:7], v8
	v_cvt_f32_f16_e32 v13, v9
	v_cvt_f64_f32_e32 v[10:11], v2
	v_mad_u64_u32 v[8:9], null, s8, v40, 0
	v_cvt_f32_f16_e32 v14, v12
	v_cvt_f64_f32_e32 v[1:2], v13
	v_fmac_f16_e32 v15, v41, v3
	v_mad_u64_u32 v[12:13], null, s11, v16, v[5:6]
	v_mul_f64 v[6:7], v[6:7], s[4:5]
	v_cvt_f64_f32_e32 v[13:14], v14
	v_cvt_f32_f16_e32 v5, v15
	v_mad_u64_u32 v[15:16], null, s9, v40, v[9:10]
	v_mul_f64 v[10:11], v[10:11], s[4:5]
	v_mul_f64 v[1:2], v[1:2], s[4:5]
	v_cvt_f64_f32_e32 v[16:17], v5
	v_mov_b32_e32 v5, v12
	v_mul_f16_sdwa v12, v41, v3 dst_sel:DWORD dst_unused:UNUSED_PAD src0_sel:WORD_1 src1_sel:DWORD
	v_mov_b32_e32 v9, v15
	v_lshlrev_b64 v[3:4], 2, v[4:5]
	v_fma_f16 v5, v41, v18, -v12
	v_lshlrev_b64 v[8:9], 2, v[8:9]
	v_add_co_u32 v12, vcc_lo, s2, v3
	v_add_co_ci_u32_e32 v15, vcc_lo, s3, v4, vcc_lo
	v_and_or_b32 v6, 0x1ff, v7, v6
	v_add_co_u32 v8, vcc_lo, v12, v8
	v_mul_f64 v[3:4], v[13:14], s[4:5]
	v_add_co_ci_u32_e32 v9, vcc_lo, v15, v9, vcc_lo
	v_and_or_b32 v10, 0x1ff, v11, v10
	v_cmp_ne_u32_e32 vcc_lo, 0, v6
	v_and_or_b32 v1, 0x1ff, v2, v1
	v_bfe_u32 v15, v7, 20, 11
	v_lshrrev_b32_e32 v18, 8, v2
	v_bfe_u32 v19, v2, 20, 11
	v_cndmask_b32_e64 v6, 0, 1, vcc_lo
	v_cmp_ne_u32_e32 vcc_lo, 0, v10
	v_mul_f64 v[12:13], v[16:17], s[4:5]
	v_lshrrev_b32_e32 v14, 8, v7
	v_bfe_u32 v17, v11, 20, 11
	v_sub_nc_u32_e32 v20, 0x3f1, v15
	v_cndmask_b32_e64 v10, 0, 1, vcc_lo
	v_cmp_ne_u32_e32 vcc_lo, 0, v1
	v_sub_nc_u32_e32 v24, 0x3f1, v19
	v_lshrrev_b32_e32 v16, 8, v11
	v_sub_nc_u32_e32 v23, 0x3f1, v17
	v_and_or_b32 v6, 0xffe, v14, v6
	v_cndmask_b32_e64 v1, 0, 1, vcc_lo
	v_and_or_b32 v3, 0x1ff, v4, v3
	v_bfe_u32 v22, v4, 20, 11
	v_med3_i32 v14, v20, 0, 13
	v_lshrrev_b32_e32 v21, 8, v4
	v_and_or_b32 v1, 0xffe, v18, v1
	v_cmp_ne_u32_e32 vcc_lo, 0, v3
	v_sub_nc_u32_e32 v18, 0x3f1, v22
	v_add_nc_u32_e32 v20, 0xfffffc10, v22
	v_med3_i32 v22, v24, 0, 13
	v_or_b32_e32 v24, 0x1000, v1
	v_cndmask_b32_e64 v3, 0, 1, vcc_lo
	v_and_or_b32 v10, 0xffe, v16, v10
	v_med3_i32 v16, v23, 0, 13
	v_or_b32_e32 v23, 0x1000, v6
	v_lshrrev_b32_e32 v26, v22, v24
	v_add_nc_u32_e32 v15, 0xfffffc10, v15
	v_cmp_ne_u32_e32 vcc_lo, 0, v6
	v_and_or_b32 v3, 0xffe, v21, v3
	v_lshrrev_b32_e32 v27, v14, v23
	v_lshlrev_b32_e32 v21, v22, v26
	v_lshl_or_b32 v25, v15, 12, v6
	v_cndmask_b32_e64 v6, 0, 1, vcc_lo
	v_add_nc_u32_e32 v19, 0xfffffc10, v19
	v_lshlrev_b32_e32 v14, v14, v27
	v_cmp_ne_u32_e32 vcc_lo, v21, v24
	v_med3_i32 v18, v18, 0, 13
	v_or_b32_e32 v29, 0x1000, v3
	v_lshl_or_b32 v28, v19, 12, v1
	v_lshl_or_b32 v24, v20, 12, v3
	v_cndmask_b32_e64 v21, 0, 1, vcc_lo
	v_cmp_ne_u32_e32 vcc_lo, v14, v23
	v_lshrrev_b32_e32 v23, v18, v29
	v_lshrrev_b32_e32 v2, 16, v2
	v_or_b32_e32 v22, 0x1000, v10
	v_or_b32_e32 v21, v26, v21
	v_cndmask_b32_e64 v14, 0, 1, vcc_lo
	v_cmp_ne_u32_e32 vcc_lo, 0, v1
	v_lshlrev_b32_e32 v18, v18, v23
	v_lshl_or_b32 v6, v6, 9, 0x7c00
	v_lshrrev_b32_e32 v7, 16, v7
	v_or_b32_e32 v14, v27, v14
	v_cndmask_b32_e64 v1, 0, 1, vcc_lo
	v_cmp_gt_i32_e32 vcc_lo, 1, v19
	v_cvt_f32_f16_e32 v5, v5
	v_lshrrev_b32_e32 v4, 16, v4
	s_mul_i32 s3, s8, 0xdc
	v_lshl_or_b32 v1, v1, 9, 0x7c00
	v_cndmask_b32_e32 v21, v28, v21, vcc_lo
	v_cmp_gt_i32_e32 vcc_lo, 1, v15
	v_cndmask_b32_e32 v14, v25, v14, vcc_lo
	v_and_b32_e32 v25, 7, v21
	v_cmp_ne_u32_e32 vcc_lo, v18, v29
	v_lshrrev_b32_e32 v21, 2, v21
	v_and_b32_e32 v26, 7, v14
	v_cmp_eq_u32_e64 s0, 3, v25
	v_cndmask_b32_e64 v18, 0, 1, vcc_lo
	v_cmp_lt_i32_e32 vcc_lo, 5, v25
	v_lshrrev_b32_e32 v14, 2, v14
	v_cmp_lt_i32_e64 s1, 5, v26
	v_cmp_eq_u32_e64 s2, 3, v26
	v_or_b32_e32 v18, v23, v18
	s_or_b32 vcc_lo, s0, vcc_lo
	v_add_co_ci_u32_e32 v21, vcc_lo, 0, v21, vcc_lo
	s_or_b32 vcc_lo, s2, s1
	s_mul_hi_u32 s2, s8, 0xdc
	v_add_co_ci_u32_e32 v14, vcc_lo, 0, v14, vcc_lo
	v_cmp_gt_i32_e32 vcc_lo, 31, v19
	v_cndmask_b32_e32 v21, 0x7c00, v21, vcc_lo
	v_cmp_gt_i32_e32 vcc_lo, 31, v15
	v_cndmask_b32_e32 v14, 0x7c00, v14, vcc_lo
	v_cmp_eq_u32_e32 vcc_lo, 0x40f, v19
	v_cndmask_b32_e32 v1, v21, v1, vcc_lo
	v_cmp_gt_i32_e32 vcc_lo, 1, v20
	v_and_or_b32 v1, 0x8000, v2, v1
	v_cndmask_b32_e32 v18, v24, v18, vcc_lo
	v_cmp_eq_u32_e32 vcc_lo, 0x40f, v15
	v_lshrrev_b32_e32 v2, v16, v22
	v_add_nc_u32_e32 v15, 0xfffffc10, v17
	v_and_b32_e32 v1, 0xffff, v1
	v_bfe_u32 v17, v13, 20, 11
	v_cndmask_b32_e32 v6, v14, v6, vcc_lo
	v_and_b32_e32 v14, 7, v18
	v_and_or_b32 v6, 0x8000, v7, v6
	v_lshlrev_b32_e32 v7, v16, v2
	v_cmp_lt_i32_e32 vcc_lo, 5, v14
	v_cmp_eq_u32_e64 s0, 3, v14
	v_lshrrev_b32_e32 v14, 2, v18
	v_lshl_or_b32 v1, v6, 16, v1
	v_cmp_ne_u32_e64 s1, v7, v22
	v_lshrrev_b32_e32 v16, 8, v13
	s_or_b32 vcc_lo, s0, vcc_lo
	v_add_co_ci_u32_e32 v7, vcc_lo, 0, v14, vcc_lo
	v_cndmask_b32_e64 v6, 0, 1, s1
	v_cmp_ne_u32_e32 vcc_lo, 0, v3
	v_lshl_or_b32 v14, v15, 12, v10
	global_store_dword v[8:9], v1, off
	v_or_b32_e32 v6, v2, v6
	v_cndmask_b32_e64 v3, 0, 1, vcc_lo
	v_cmp_gt_i32_e32 vcc_lo, 1, v15
	v_cvt_f64_f32_e32 v[1:2], v5
	v_and_or_b32 v5, 0x1ff, v13, v12
	v_lshl_or_b32 v3, v3, 9, 0x7c00
	v_cndmask_b32_e32 v14, v14, v6, vcc_lo
	v_cmp_gt_i32_e32 vcc_lo, 31, v20
	v_cndmask_b32_e32 v6, 0x7c00, v7, vcc_lo
	v_cmp_ne_u32_e32 vcc_lo, 0, v5
	v_and_b32_e32 v7, 7, v14
	v_cndmask_b32_e64 v12, 0, 1, vcc_lo
	v_cmp_eq_u32_e32 vcc_lo, 0x40f, v20
	v_cmp_eq_u32_e64 s0, 3, v7
	v_and_or_b32 v12, 0xffe, v16, v12
	v_cndmask_b32_e32 v3, v6, v3, vcc_lo
	ds_read2_b32 v[5:6], v36 offset0:66 offset1:77
	v_cmp_lt_i32_e32 vcc_lo, 5, v7
	v_mul_f64 v[1:2], v[1:2], s[4:5]
	v_lshrrev_b32_e32 v7, 2, v14
	v_sub_nc_u32_e32 v16, 0x3f1, v17
	v_or_b32_e32 v14, 0x1000, v12
	s_or_b32 vcc_lo, s0, vcc_lo
	v_and_or_b32 v19, 0x8000, v4, v3
	v_add_co_ci_u32_e32 v7, vcc_lo, 0, v7, vcc_lo
	v_med3_i32 v16, v16, 0, 13
	v_cmp_ne_u32_e32 vcc_lo, 0, v10
	s_mul_i32 s0, s9, 0xdc
	s_add_i32 s2, s2, s0
	v_lshrrev_b32_e32 v18, v16, v14
	v_cndmask_b32_e64 v10, 0, 1, vcc_lo
	v_cmp_gt_i32_e32 vcc_lo, 31, v15
	s_waitcnt lgkmcnt(0)
	v_lshrrev_b32_e32 v20, 16, v5
	v_lshl_or_b32 v10, v10, 9, 0x7c00
	v_cndmask_b32_e32 v7, 0x7c00, v7, vcc_lo
	v_lshlrev_b32_e32 v3, v16, v18
	v_cmp_eq_u32_e32 vcc_lo, 0x40f, v15
	v_and_or_b32 v1, 0x1ff, v2, v1
	v_add_nc_u32_e32 v16, 0xfffffc10, v17
	v_cndmask_b32_e32 v4, v7, v10, vcc_lo
	v_mul_f16_sdwa v10, v39, v20 dst_sel:DWORD dst_unused:UNUSED_PAD src0_sel:WORD_1 src1_sel:DWORD
	v_cmp_ne_u32_e32 vcc_lo, v3, v14
	v_lshrrev_b32_e32 v7, 16, v11
	v_lshrrev_b32_e32 v11, 8, v2
	v_bfe_u32 v14, v2, 20, 11
	v_fmac_f16_e32 v10, v39, v5
	v_cndmask_b32_e64 v3, 0, 1, vcc_lo
	v_cmp_ne_u32_e32 vcc_lo, 0, v1
	v_and_or_b32 v7, 0x8000, v7, v4
	v_lshl_or_b32 v4, v16, 12, v12
	v_cvt_f32_f16_e32 v10, v10
	v_or_b32_e32 v3, v18, v3
	v_cndmask_b32_e64 v1, 0, 1, vcc_lo
	v_cmp_gt_i32_e32 vcc_lo, 1, v16
	v_mul_f16_sdwa v5, v39, v5 dst_sel:DWORD dst_unused:UNUSED_PAD src0_sel:WORD_1 src1_sel:DWORD
	v_lshrrev_b32_e32 v2, 16, v2
	v_and_or_b32 v1, 0xffe, v11, v1
	v_cndmask_b32_e32 v15, v4, v3, vcc_lo
	v_cvt_f64_f32_e32 v[3:4], v10
	v_sub_nc_u32_e32 v10, 0x3f1, v14
	v_and_b32_e32 v11, 0xffff, v19
	v_or_b32_e32 v18, 0x1000, v1
	v_and_b32_e32 v17, 7, v15
	v_fma_f16 v5, v39, v20, -v5
	v_med3_i32 v10, v10, 0, 13
	v_lshl_or_b32 v19, v7, 16, v11
	v_lshrrev_b32_e32 v11, 2, v15
	v_cmp_lt_i32_e32 vcc_lo, 5, v17
	v_cmp_eq_u32_e64 s0, 3, v17
	v_lshrrev_b32_e32 v7, v10, v18
	v_cvt_f32_f16_e32 v5, v5
	v_add_nc_u32_e32 v17, 0xfffffc10, v14
	s_or_b32 vcc_lo, s0, vcc_lo
	v_lshlrev_b32_e32 v10, v10, v7
	v_add_co_ci_u32_e32 v15, vcc_lo, 0, v11, vcc_lo
	v_lshl_or_b32 v14, v17, 12, v1
	v_cmp_ne_u32_e32 vcc_lo, v10, v18
	v_mul_f64 v[3:4], v[3:4], s[4:5]
	v_cndmask_b32_e64 v10, 0, 1, vcc_lo
	v_cmp_ne_u32_e32 vcc_lo, 0, v12
	v_or_b32_e32 v7, v7, v10
	v_cvt_f64_f32_e32 v[10:11], v5
	v_cndmask_b32_e64 v12, 0, 1, vcc_lo
	v_cmp_gt_i32_e32 vcc_lo, 31, v16
	v_lshl_or_b32 v12, v12, 9, 0x7c00
	v_cndmask_b32_e32 v5, 0x7c00, v15, vcc_lo
	v_cmp_gt_i32_e32 vcc_lo, 1, v17
	v_and_or_b32 v3, 0x1ff, v4, v3
	v_cndmask_b32_e32 v18, v14, v7, vcc_lo
	v_add_co_u32 v7, vcc_lo, v8, s3
	v_add_co_ci_u32_e32 v8, vcc_lo, s2, v9, vcc_lo
	v_and_b32_e32 v9, 7, v18
	v_cmp_eq_u32_e32 vcc_lo, 0x40f, v16
	ds_read2_b32 v[14:15], v36 offset0:22 offset1:33
	v_cmp_ne_u32_e64 s1, 0, v3
	v_lshrrev_b32_e32 v16, 8, v4
	v_cmp_eq_u32_e64 s0, 3, v9
	v_cndmask_b32_e32 v5, v5, v12, vcc_lo
	v_cmp_lt_i32_e32 vcc_lo, 5, v9
	v_mul_f64 v[9:10], v[10:11], s[4:5]
	v_lshrrev_b32_e32 v12, 16, v13
	v_lshrrev_b32_e32 v13, 2, v18
	v_cndmask_b32_e64 v3, 0, 1, s1
	s_or_b32 vcc_lo, s0, vcc_lo
	v_bfe_u32 v11, v4, 20, 11
	v_and_or_b32 v5, 0x8000, v12, v5
	v_add_co_ci_u32_e32 v13, vcc_lo, 0, v13, vcc_lo
	v_cmp_ne_u32_e32 vcc_lo, 0, v1
	v_and_or_b32 v3, 0xffe, v16, v3
	v_sub_nc_u32_e32 v16, 0x3f1, v11
	v_and_b32_e32 v5, 0xffff, v5
	s_mul_hi_u32 s0, s8, 0xffffff50
	v_cndmask_b32_e64 v1, 0, 1, vcc_lo
	s_waitcnt lgkmcnt(0)
	v_lshrrev_b32_e32 v18, 16, v14
	v_cmp_gt_i32_e32 vcc_lo, 31, v17
	v_or_b32_e32 v20, 0x1000, v3
	v_med3_i32 v16, v16, 0, 13
	v_lshl_or_b32 v1, v1, 9, 0x7c00
	v_mul_f16_sdwa v21, v38, v18 dst_sel:DWORD dst_unused:UNUSED_PAD src0_sel:WORD_1 src1_sel:DWORD
	v_cndmask_b32_e32 v13, 0x7c00, v13, vcc_lo
	v_cmp_eq_u32_e32 vcc_lo, 0x40f, v17
	v_and_or_b32 v9, 0x1ff, v10, v9
	v_lshrrev_b32_e32 v12, v16, v20
	v_fmac_f16_e32 v21, v38, v14
	v_lshrrev_b32_e32 v17, 8, v10
	v_cndmask_b32_e32 v1, v13, v1, vcc_lo
	v_cmp_ne_u32_e32 vcc_lo, 0, v9
	v_lshlrev_b32_e32 v16, v16, v12
	s_mul_i32 s1, s9, 0xffffff50
	s_sub_i32 s6, s0, s8
	v_and_or_b32 v13, 0x8000, v2, v1
	v_cvt_f32_f16_e32 v1, v21
	v_cndmask_b32_e64 v9, 0, 1, vcc_lo
	v_bfe_u32 v21, v10, 20, 11
	v_cmp_ne_u32_e32 vcc_lo, v16, v20
	v_add_nc_u32_e32 v20, 0xfffffc10, v11
	v_cvt_f64_f32_e32 v[1:2], v1
	v_and_or_b32 v9, 0xffe, v17, v9
	v_sub_nc_u32_e32 v11, 0x3f1, v21
	v_cndmask_b32_e64 v16, 0, 1, vcc_lo
	v_cmp_gt_i32_e32 vcc_lo, 1, v20
	v_lshl_or_b32 v5, v13, 16, v5
	v_or_b32_e32 v17, 0x1000, v9
	v_med3_i32 v11, v11, 0, 13
	v_or_b32_e32 v12, v12, v16
	v_lshl_or_b32 v16, v20, 12, v3
	s_add_i32 s6, s6, s1
	v_mul_f16_sdwa v14, v38, v14 dst_sel:DWORD dst_unused:UNUSED_PAD src0_sel:WORD_1 src1_sel:DWORD
	v_lshrrev_b32_e32 v22, v11, v17
	v_cndmask_b32_e32 v16, v16, v12, vcc_lo
	v_fma_f16 v14, v38, v18, -v14
	v_lshlrev_b32_e32 v23, v11, v22
	v_add_co_u32 v11, vcc_lo, v7, s7
	v_and_b32_e32 v13, 7, v16
	v_add_co_ci_u32_e32 v12, vcc_lo, s6, v8, vcc_lo
	v_cmp_ne_u32_e64 s0, v23, v17
	v_mul_f64 v[1:2], v[1:2], s[4:5]
	v_cmp_lt_i32_e32 vcc_lo, 5, v13
	v_lshrrev_b32_e32 v16, 2, v16
	v_cvt_f32_f16_e32 v14, v14
	v_cndmask_b32_e64 v17, 0, 1, s0
	v_cmp_eq_u32_e64 s0, 3, v13
	v_add_nc_u32_e32 v18, 0xfffffc10, v21
	global_store_dword v[7:8], v19, off
	global_store_dword v[11:12], v5, off
	v_cvt_f64_f32_e32 v[13:14], v14
	v_or_b32_e32 v17, v22, v17
	s_or_b32 vcc_lo, s0, vcc_lo
	v_lshl_or_b32 v21, v18, 12, v9
	v_add_co_ci_u32_e32 v16, vcc_lo, 0, v16, vcc_lo
	v_cmp_ne_u32_e32 vcc_lo, 0, v3
	v_cndmask_b32_e64 v3, 0, 1, vcc_lo
	v_cmp_gt_i32_e32 vcc_lo, 1, v18
	v_and_or_b32 v1, 0x1ff, v2, v1
	v_lshrrev_b32_e32 v22, 8, v2
	v_lshl_or_b32 v3, v3, 9, 0x7c00
	v_cndmask_b32_e32 v17, v21, v17, vcc_lo
	v_cmp_gt_i32_e32 vcc_lo, 31, v20
	v_bfe_u32 v23, v2, 20, 11
	v_lshrrev_b32_e32 v19, 16, v2
	v_and_b32_e32 v21, 7, v17
	v_cndmask_b32_e32 v16, 0x7c00, v16, vcc_lo
	v_cmp_ne_u32_e32 vcc_lo, 0, v1
	v_cmp_eq_u32_e64 s0, 3, v21
	v_cndmask_b32_e64 v1, 0, 1, vcc_lo
	v_cmp_eq_u32_e32 vcc_lo, 0x40f, v20
	v_lshrrev_b32_e32 v20, 16, v4
	v_and_or_b32 v1, 0xffe, v22, v1
	v_cndmask_b32_e32 v16, v16, v3, vcc_lo
	v_cmp_lt_i32_e32 vcc_lo, 5, v21
	v_mul_f64 v[3:4], v[13:14], s[4:5]
	v_lshrrev_b32_e32 v14, 2, v17
	v_sub_nc_u32_e32 v22, 0x3f1, v23
	v_or_b32_e32 v17, 0x1000, v1
	s_or_b32 vcc_lo, s0, vcc_lo
	v_lshrrev_b32_e32 v13, 16, v6
	v_add_co_ci_u32_e32 v14, vcc_lo, 0, v14, vcc_lo
	v_med3_i32 v21, v22, 0, 13
	v_cmp_ne_u32_e32 vcc_lo, 0, v9
	v_mul_f16_sdwa v22, v37, v13 dst_sel:DWORD dst_unused:UNUSED_PAD src0_sel:WORD_1 src1_sel:DWORD
	v_and_or_b32 v16, 0x8000, v20, v16
	v_lshrrev_b32_e32 v24, v21, v17
	v_cndmask_b32_e64 v9, 0, 1, vcc_lo
	v_cmp_gt_i32_e32 vcc_lo, 31, v18
	v_fmac_f16_e32 v22, v37, v6
	v_and_b32_e32 v16, 0xffff, v16
	v_lshlrev_b32_e32 v20, v21, v24
	v_lshl_or_b32 v9, v9, 9, 0x7c00
	v_cndmask_b32_e32 v14, 0x7c00, v14, vcc_lo
	v_cmp_eq_u32_e32 vcc_lo, 0x40f, v18
	v_and_or_b32 v3, 0x1ff, v4, v3
	v_cvt_f32_f16_e32 v21, v22
	v_lshrrev_b32_e32 v18, 16, v10
	v_bfe_u32 v22, v4, 20, 11
	v_cndmask_b32_e32 v14, v14, v9, vcc_lo
	v_cmp_ne_u32_e32 vcc_lo, v20, v17
	v_cvt_f64_f32_e32 v[9:10], v21
	v_add_nc_u32_e32 v20, 0xfffffc10, v23
	v_lshrrev_b32_e32 v21, 8, v4
	v_and_or_b32 v14, 0x8000, v18, v14
	v_cndmask_b32_e64 v17, 0, 1, vcc_lo
	v_cmp_ne_u32_e32 vcc_lo, 0, v3
	v_lshl_or_b32 v18, v20, 12, v1
	v_mul_f16_sdwa v6, v37, v6 dst_sel:DWORD dst_unused:UNUSED_PAD src0_sel:WORD_1 src1_sel:DWORD
	v_lshl_or_b32 v14, v14, 16, v16
	v_or_b32_e32 v17, v24, v17
	v_cndmask_b32_e64 v3, 0, 1, vcc_lo
	v_cmp_gt_i32_e32 vcc_lo, 1, v20
	v_fma_f16 v6, v37, v13, -v6
	v_and_or_b32 v3, 0xffe, v21, v3
	v_sub_nc_u32_e32 v21, 0x3f1, v22
	v_cndmask_b32_e32 v17, v18, v17, vcc_lo
	v_or_b32_e32 v18, 0x1000, v3
	v_med3_i32 v21, v21, 0, 13
	v_and_b32_e32 v5, 7, v17
	v_mul_f64 v[7:8], v[9:10], s[4:5]
	v_add_co_u32 v9, vcc_lo, v11, s3
	v_lshrrev_b32_e32 v16, v21, v18
	v_add_co_ci_u32_e32 v10, vcc_lo, s2, v12, vcc_lo
	v_cmp_lt_i32_e32 vcc_lo, 5, v5
	v_cmp_eq_u32_e64 s0, 3, v5
	v_lshlrev_b32_e32 v11, v21, v16
	v_lshrrev_b32_e32 v5, 2, v17
	v_add_nc_u32_e32 v12, 0xfffffc10, v22
	global_store_dword v[9:10], v14, off
	s_or_b32 vcc_lo, s0, vcc_lo
	v_cmp_ne_u32_e64 s1, v11, v18
	v_add_co_ci_u32_e32 v13, vcc_lo, 0, v5, vcc_lo
	v_cmp_ne_u32_e32 vcc_lo, 0, v1
	v_cvt_f32_f16_e32 v5, v6
	v_cndmask_b32_e64 v11, 0, 1, s1
	v_cndmask_b32_e64 v1, 0, 1, vcc_lo
	v_cmp_gt_i32_e32 vcc_lo, 1, v12
	v_or_b32_e32 v11, v16, v11
	v_lshl_or_b32 v16, v12, 12, v3
	v_cvt_f64_f32_e32 v[5:6], v5
	v_and_or_b32 v7, 0x1ff, v8, v7
	v_lshl_or_b32 v1, v1, 9, 0x7c00
	v_bfe_u32 v18, v8, 20, 11
	v_cndmask_b32_e32 v11, v16, v11, vcc_lo
	v_cmp_gt_i32_e32 vcc_lo, 31, v20
	v_lshrrev_b32_e32 v17, 8, v8
	v_and_b32_e32 v16, 7, v11
	v_cndmask_b32_e32 v13, 0x7c00, v13, vcc_lo
	v_cmp_ne_u32_e32 vcc_lo, 0, v7
	v_lshrrev_b32_e32 v11, 2, v11
	v_cmp_eq_u32_e64 s0, 3, v16
	v_cndmask_b32_e64 v7, 0, 1, vcc_lo
	v_cmp_eq_u32_e32 vcc_lo, 0x40f, v20
	v_lshrrev_b32_e32 v20, 16, v15
	v_and_or_b32 v7, 0xffe, v17, v7
	v_cndmask_b32_e32 v13, v13, v1, vcc_lo
	v_sub_nc_u32_e32 v1, 0x3f1, v18
	v_cmp_lt_i32_e32 vcc_lo, 5, v16
	v_or_b32_e32 v16, 0x1000, v7
	v_and_or_b32 v13, 0x8000, v19, v13
	v_med3_i32 v17, v1, 0, 13
	v_mul_f64 v[1:2], v[5:6], s[4:5]
	s_or_b32 vcc_lo, s0, vcc_lo
	v_add_co_ci_u32_e32 v5, vcc_lo, 0, v11, vcc_lo
	v_cmp_ne_u32_e32 vcc_lo, 0, v3
	v_lshrrev_b32_e32 v6, v17, v16
	v_mul_f16_sdwa v11, v35, v20 dst_sel:DWORD dst_unused:UNUSED_PAD src0_sel:WORD_1 src1_sel:DWORD
	v_and_b32_e32 v13, 0xffff, v13
	v_cndmask_b32_e64 v3, 0, 1, vcc_lo
	v_cmp_gt_i32_e32 vcc_lo, 31, v12
	v_lshlrev_b32_e32 v17, v17, v6
	v_fmac_f16_e32 v11, v35, v15
	v_lshl_or_b32 v3, v3, 9, 0x7c00
	v_cndmask_b32_e32 v5, 0x7c00, v5, vcc_lo
	v_cmp_eq_u32_e32 vcc_lo, 0x40f, v12
	v_lshrrev_b32_e32 v12, 16, v4
	v_cndmask_b32_e32 v5, v5, v3, vcc_lo
	v_cmp_ne_u32_e32 vcc_lo, v17, v16
	v_and_or_b32 v1, 0x1ff, v2, v1
	v_cvt_f32_f16_e32 v3, v11
	v_add_nc_u32_e32 v16, 0xfffffc10, v18
	v_and_or_b32 v5, 0x8000, v12, v5
	v_cndmask_b32_e64 v11, 0, 1, vcc_lo
	v_cmp_ne_u32_e32 vcc_lo, 0, v1
	v_cvt_f64_f32_e32 v[3:4], v3
	v_lshrrev_b32_e32 v12, 8, v2
	v_bfe_u32 v17, v2, 20, 11
	v_or_b32_e32 v6, v6, v11
	v_lshl_or_b32 v11, v16, 12, v7
	v_cndmask_b32_e64 v1, 0, 1, vcc_lo
	v_cmp_gt_i32_e32 vcc_lo, 1, v16
	v_lshrrev_b32_e32 v2, 16, v2
	v_and_or_b32 v1, 0xffe, v12, v1
	v_cndmask_b32_e32 v11, v11, v6, vcc_lo
	v_sub_nc_u32_e32 v6, 0x3f1, v17
	v_lshl_or_b32 v12, v5, 16, v13
	v_add_co_u32 v5, vcc_lo, v9, s7
	v_or_b32_e32 v14, 0x1000, v1
	v_med3_i32 v18, v6, 0, 13
	v_and_b32_e32 v13, 7, v11
	v_add_co_ci_u32_e32 v6, vcc_lo, s6, v10, vcc_lo
	v_lshrrev_b32_e32 v10, 2, v11
	v_lshrrev_b32_e32 v19, v18, v14
	v_cmp_lt_i32_e32 vcc_lo, 5, v13
	v_cmp_eq_u32_e64 s0, 3, v13
	v_mul_f64 v[3:4], v[3:4], s[4:5]
	v_mul_f16_sdwa v9, v35, v15 dst_sel:DWORD dst_unused:UNUSED_PAD src0_sel:WORD_1 src1_sel:DWORD
	v_lshlrev_b32_e32 v11, v18, v19
	v_add_nc_u32_e32 v15, 0xfffffc10, v17
	s_or_b32 vcc_lo, s0, vcc_lo
	global_store_dword v[5:6], v12, off
	v_add_co_ci_u32_e32 v13, vcc_lo, 0, v10, vcc_lo
	v_cmp_ne_u32_e32 vcc_lo, v11, v14
	v_fma_f16 v9, v35, v20, -v9
	v_lshl_or_b32 v17, v15, 12, v1
	v_add_co_u32 v5, s1, v5, s3
	v_cndmask_b32_e64 v14, 0, 1, vcc_lo
	v_cmp_ne_u32_e32 vcc_lo, 0, v7
	v_cvt_f32_f16_e32 v11, v9
	ds_read2_b32 v[9:10], v36 offset0:88 offset1:99
	v_add_co_ci_u32_e64 v6, s1, s2, v6, s1
	v_cndmask_b32_e64 v7, 0, 1, vcc_lo
	v_cmp_gt_i32_e32 vcc_lo, 31, v16
	v_cvt_f64_f32_e32 v[11:12], v11
	v_or_b32_e32 v14, v19, v14
	v_and_or_b32 v3, 0x1ff, v4, v3
	v_bfe_u32 v18, v4, 20, 11
	v_cndmask_b32_e32 v13, 0x7c00, v13, vcc_lo
	v_cmp_gt_i32_e32 vcc_lo, 1, v15
	v_lshl_or_b32 v7, v7, 9, 0x7c00
	v_sub_nc_u32_e32 v19, 0x3f1, v18
	v_add_nc_u32_e32 v18, 0xfffffc10, v18
	v_cndmask_b32_e32 v14, v17, v14, vcc_lo
	v_cmp_ne_u32_e32 vcc_lo, 0, v3
	v_lshrrev_b32_e32 v17, 8, v4
	v_lshrrev_b32_e32 v4, 16, v4
	s_waitcnt lgkmcnt(0)
	v_lshrrev_b32_e32 v20, 16, v9
	v_cndmask_b32_e64 v3, 0, 1, vcc_lo
	v_cmp_eq_u32_e32 vcc_lo, 0x40f, v16
	v_and_b32_e32 v16, 7, v14
	v_lshrrev_b32_e32 v14, 2, v14
	v_and_or_b32 v3, 0xffe, v17, v3
	v_cndmask_b32_e32 v13, v13, v7, vcc_lo
	v_cmp_lt_i32_e32 vcc_lo, 5, v16
	v_cmp_eq_u32_e64 s0, 3, v16
	v_lshrrev_b32_e32 v17, 16, v8
	v_mul_f64 v[7:8], v[11:12], s[4:5]
	v_or_b32_e32 v21, 0x1000, v3
	v_med3_i32 v11, v19, 0, 13
	v_mul_f16_sdwa v12, v34, v20 dst_sel:DWORD dst_unused:UNUSED_PAD src0_sel:WORD_1 src1_sel:DWORD
	s_or_b32 vcc_lo, s0, vcc_lo
	v_and_or_b32 v13, 0x8000, v17, v13
	v_add_co_ci_u32_e32 v14, vcc_lo, 0, v14, vcc_lo
	v_lshrrev_b32_e32 v16, v11, v21
	v_cmp_ne_u32_e32 vcc_lo, 0, v1
	v_fmac_f16_e32 v12, v34, v9
	v_and_b32_e32 v13, 0xffff, v13
	v_mul_f16_sdwa v9, v34, v9 dst_sel:DWORD dst_unused:UNUSED_PAD src0_sel:WORD_1 src1_sel:DWORD
	v_lshlrev_b32_e32 v17, v11, v16
	v_cndmask_b32_e64 v1, 0, 1, vcc_lo
	v_cmp_gt_i32_e32 vcc_lo, 31, v15
	v_cvt_f32_f16_e32 v12, v12
	v_fma_f16 v9, v34, v20, -v9
	v_lshl_or_b32 v1, v1, 9, 0x7c00
	v_cndmask_b32_e32 v14, 0x7c00, v14, vcc_lo
	v_cmp_ne_u32_e32 vcc_lo, v17, v21
	v_cvt_f64_f32_e32 v[11:12], v12
	v_and_or_b32 v7, 0x1ff, v8, v7
	v_cvt_f32_f16_e32 v9, v9
	v_cndmask_b32_e64 v17, 0, 1, vcc_lo
	v_cmp_eq_u32_e32 vcc_lo, 0x40f, v15
	v_lshl_or_b32 v15, v18, 12, v3
	v_cndmask_b32_e32 v1, v14, v1, vcc_lo
	v_cmp_ne_u32_e32 vcc_lo, 0, v7
	v_or_b32_e32 v14, v16, v17
	v_lshrrev_b32_e32 v16, 8, v8
	v_bfe_u32 v17, v8, 20, 11
	v_lshrrev_b32_e32 v8, 16, v8
	v_cndmask_b32_e64 v7, 0, 1, vcc_lo
	v_cmp_gt_i32_e32 vcc_lo, 1, v18
	v_and_or_b32 v7, 0xffe, v16, v7
	v_sub_nc_u32_e32 v16, 0x3f1, v17
	v_cndmask_b32_e32 v14, v15, v14, vcc_lo
	v_and_or_b32 v15, 0x8000, v2, v1
	v_mul_f64 v[1:2], v[11:12], s[4:5]
	v_or_b32_e32 v21, 0x1000, v7
	v_med3_i32 v11, v16, 0, 13
	v_and_b32_e32 v19, 7, v14
	v_lshl_or_b32 v13, v15, 16, v13
	v_lshrrev_b32_e32 v12, 2, v14
	v_lshrrev_b32_e32 v15, v11, v21
	v_cmp_lt_i32_e32 vcc_lo, 5, v19
	v_cmp_eq_u32_e64 s0, 3, v19
	v_lshlrev_b32_e32 v11, v11, v15
	s_or_b32 vcc_lo, s0, vcc_lo
	v_add_co_ci_u32_e32 v14, vcc_lo, 0, v12, vcc_lo
	v_cmp_ne_u32_e32 vcc_lo, v11, v21
	v_cvt_f64_f32_e32 v[11:12], v9
	v_add_nc_u32_e32 v9, 0xfffffc10, v17
	v_and_or_b32 v1, 0x1ff, v2, v1
	v_cndmask_b32_e64 v16, 0, 1, vcc_lo
	v_cmp_gt_i32_e32 vcc_lo, 31, v18
	v_lshrrev_b32_e32 v17, 8, v2
	v_bfe_u32 v19, v2, 20, 11
	v_or_b32_e32 v15, v15, v16
	v_cndmask_b32_e32 v14, 0x7c00, v14, vcc_lo
	v_cmp_ne_u32_e32 vcc_lo, 0, v1
	v_lshl_or_b32 v16, v9, 12, v7
	v_cndmask_b32_e64 v1, 0, 1, vcc_lo
	v_cmp_ne_u32_e32 vcc_lo, 0, v3
	v_and_or_b32 v1, 0xffe, v17, v1
	v_cndmask_b32_e64 v3, 0, 1, vcc_lo
	v_cmp_gt_i32_e32 vcc_lo, 1, v9
	v_lshrrev_b32_e32 v17, 16, v0
	v_mul_f64 v[11:12], v[11:12], s[4:5]
	v_or_b32_e32 v21, 0x1000, v1
	v_lshl_or_b32 v3, v3, 9, 0x7c00
	v_cndmask_b32_e32 v15, v16, v15, vcc_lo
	v_sub_nc_u32_e32 v16, 0x3f1, v19
	v_cmp_eq_u32_e32 vcc_lo, 0x40f, v18
	v_mul_f16_sdwa v22, v33, v17 dst_sel:DWORD dst_unused:UNUSED_PAD src0_sel:WORD_1 src1_sel:DWORD
	v_add_nc_u32_e32 v19, 0xfffffc10, v19
	v_and_b32_e32 v20, 7, v15
	v_med3_i32 v16, v16, 0, 13
	v_cndmask_b32_e32 v3, v14, v3, vcc_lo
	v_fmac_f16_e32 v22, v33, v0
	v_mul_f16_sdwa v0, v33, v0 dst_sel:DWORD dst_unused:UNUSED_PAD src0_sel:WORD_1 src1_sel:DWORD
	v_cmp_lt_i32_e32 vcc_lo, 5, v20
	v_lshrrev_b32_e32 v14, v16, v21
	v_cmp_eq_u32_e64 s0, 3, v20
	v_and_or_b32 v18, 0x8000, v4, v3
	v_lshrrev_b32_e32 v3, 2, v15
	v_cvt_f32_f16_e32 v15, v22
	v_lshlrev_b32_e32 v4, v16, v14
	s_or_b32 vcc_lo, s0, vcc_lo
	v_fma_f16 v0, v33, v17, -v0
	v_add_co_ci_u32_e32 v16, vcc_lo, 0, v3, vcc_lo
	v_cmp_ne_u32_e32 vcc_lo, v4, v21
	v_cvt_f64_f32_e32 v[3:4], v15
	v_lshl_or_b32 v15, v19, 12, v1
	v_and_or_b32 v11, 0x1ff, v12, v11
	v_cvt_f32_f16_e32 v0, v0
	v_cndmask_b32_e64 v20, 0, 1, vcc_lo
	v_cmp_ne_u32_e32 vcc_lo, 0, v7
	v_or_b32_e32 v14, v14, v20
	v_cndmask_b32_e64 v7, 0, 1, vcc_lo
	v_cmp_gt_i32_e32 vcc_lo, 31, v9
	v_bfe_u32 v20, v12, 20, 11
	v_lshl_or_b32 v7, v7, 9, 0x7c00
	v_cndmask_b32_e32 v16, 0x7c00, v16, vcc_lo
	v_cmp_gt_i32_e32 vcc_lo, 1, v19
	v_cndmask_b32_e32 v14, v15, v14, vcc_lo
	v_cmp_ne_u32_e32 vcc_lo, 0, v11
	v_lshrrev_b32_e32 v15, 8, v12
	v_mul_f64 v[3:4], v[3:4], s[4:5]
	v_lshrrev_b32_e32 v12, 16, v12
	v_and_b32_e32 v21, 7, v14
	v_cndmask_b32_e64 v11, 0, 1, vcc_lo
	v_cmp_eq_u32_e32 vcc_lo, 0x40f, v9
	v_cmp_eq_u32_e64 s0, 3, v21
	v_and_or_b32 v9, 0xffe, v15, v11
	v_cndmask_b32_e32 v7, v16, v7, vcc_lo
	v_sub_nc_u32_e32 v11, 0x3f1, v20
	v_cmp_lt_i32_e32 vcc_lo, 5, v21
	v_or_b32_e32 v15, 0x1000, v9
	v_and_or_b32 v7, 0x8000, v8, v7
	v_lshrrev_b32_e32 v8, 2, v14
	v_med3_i32 v11, v11, 0, 13
	s_or_b32 vcc_lo, s0, vcc_lo
	v_and_b32_e32 v14, 0xffff, v18
	v_lshrrev_b32_e32 v18, 16, v2
	v_add_co_ci_u32_e32 v8, vcc_lo, 0, v8, vcc_lo
	v_lshrrev_b32_e32 v16, v11, v15
	v_cmp_ne_u32_e32 vcc_lo, 0, v1
	v_lshl_or_b32 v14, v7, 16, v14
	v_and_or_b32 v3, 0x1ff, v4, v3
	v_bfe_u32 v17, v4, 20, 11
	v_lshlrev_b32_e32 v7, v11, v16
	v_cndmask_b32_e64 v1, 0, 1, vcc_lo
	v_cmp_gt_i32_e32 vcc_lo, 31, v19
	v_add_nc_u32_e32 v11, 0xfffffc10, v20
	v_lshl_or_b32 v1, v1, 9, 0x7c00
	v_cndmask_b32_e32 v8, 0x7c00, v8, vcc_lo
	v_cmp_ne_u32_e32 vcc_lo, v7, v15
	v_lshl_or_b32 v15, v11, 12, v9
	v_cndmask_b32_e64 v7, 0, 1, vcc_lo
	v_cmp_eq_u32_e32 vcc_lo, 0x40f, v19
	v_or_b32_e32 v7, v16, v7
	v_cndmask_b32_e32 v8, v8, v1, vcc_lo
	v_cmp_ne_u32_e32 vcc_lo, 0, v3
	v_lshrrev_b32_e32 v16, 8, v4
	v_cvt_f64_f32_e32 v[0:1], v0
	v_lshrrev_b32_e32 v4, 16, v4
	v_and_or_b32 v18, 0x8000, v18, v8
	v_cndmask_b32_e64 v3, 0, 1, vcc_lo
	v_cmp_gt_i32_e32 vcc_lo, 1, v11
	v_cndmask_b32_e32 v7, v15, v7, vcc_lo
	v_and_or_b32 v15, 0xffe, v16, v3
	v_sub_nc_u32_e32 v3, 0x3f1, v17
	v_lshrrev_b32_e32 v16, 16, v10
	v_add_co_u32 v2, vcc_lo, v5, s7
	v_or_b32_e32 v20, 0x1000, v15
	v_med3_i32 v21, v3, 0, 13
	v_and_b32_e32 v19, 7, v7
	v_mul_f16_sdwa v22, v32, v16 dst_sel:DWORD dst_unused:UNUSED_PAD src0_sel:WORD_1 src1_sel:DWORD
	v_add_co_ci_u32_e32 v3, vcc_lo, s6, v6, vcc_lo
	v_lshrrev_b32_e32 v23, v21, v20
	v_cmp_lt_i32_e32 vcc_lo, 5, v19
	v_fmac_f16_e32 v22, v32, v10
	v_cmp_eq_u32_e64 s0, 3, v19
	v_lshrrev_b32_e32 v7, 2, v7
	v_lshlrev_b32_e32 v19, v21, v23
	v_mul_f64 v[0:1], v[0:1], s[4:5]
	v_cvt_f32_f16_e32 v8, v22
	s_or_b32 vcc_lo, s0, vcc_lo
	v_add_nc_u32_e32 v17, 0xfffffc10, v17
	v_add_co_ci_u32_e32 v21, vcc_lo, 0, v7, vcc_lo
	v_cmp_ne_u32_e32 vcc_lo, v19, v20
	v_cvt_f64_f32_e32 v[7:8], v8
	v_mul_f16_sdwa v10, v32, v10 dst_sel:DWORD dst_unused:UNUSED_PAD src0_sel:WORD_1 src1_sel:DWORD
	v_lshl_or_b32 v20, v17, 12, v15
	v_cndmask_b32_e64 v19, 0, 1, vcc_lo
	v_cmp_ne_u32_e32 vcc_lo, 0, v9
	v_fma_f16 v10, v32, v16, -v10
	v_or_b32_e32 v19, v23, v19
	v_cndmask_b32_e64 v9, 0, 1, vcc_lo
	v_cmp_gt_i32_e32 vcc_lo, 31, v11
	v_cvt_f32_f16_e32 v10, v10
	v_lshl_or_b32 v9, v9, 9, 0x7c00
	v_cndmask_b32_e32 v16, 0x7c00, v21, vcc_lo
	v_cmp_gt_i32_e32 vcc_lo, 1, v17
	v_and_or_b32 v0, 0x1ff, v1, v0
	v_bfe_u32 v21, v1, 20, 11
	v_cndmask_b32_e32 v19, v20, v19, vcc_lo
	v_cmp_eq_u32_e32 vcc_lo, 0x40f, v11
	v_mul_f64 v[7:8], v[7:8], s[4:5]
	v_lshrrev_b32_e32 v20, 8, v1
	v_lshrrev_b32_e32 v1, 16, v1
	v_cndmask_b32_e32 v11, v16, v9, vcc_lo
	v_cvt_f64_f32_e32 v[9:10], v10
	v_cmp_ne_u32_e32 vcc_lo, 0, v0
	v_and_b32_e32 v16, 7, v19
	v_and_or_b32 v11, 0x8000, v12, v11
	v_and_b32_e32 v12, 0xffff, v18
	v_cndmask_b32_e64 v0, 0, 1, vcc_lo
	v_cmp_lt_i32_e32 vcc_lo, 5, v16
	v_cmp_eq_u32_e64 s0, 3, v16
	v_sub_nc_u32_e32 v18, 0x3f1, v21
	v_lshl_or_b32 v11, v11, 16, v12
	v_lshrrev_b32_e32 v12, 2, v19
	v_and_or_b32 v0, 0xffe, v20, v0
	s_or_b32 vcc_lo, s0, vcc_lo
	v_med3_i32 v18, v18, 0, 13
	v_add_co_ci_u32_e32 v12, vcc_lo, 0, v12, vcc_lo
	v_or_b32_e32 v16, 0x1000, v0
	v_cmp_ne_u32_e32 vcc_lo, 0, v15
	v_and_or_b32 v7, 0x1ff, v8, v7
	v_lshrrev_b32_e32 v20, 8, v8
	v_mul_f64 v[9:10], v[9:10], s[4:5]
	v_lshrrev_b32_e32 v19, v18, v16
	v_cndmask_b32_e64 v15, 0, 1, vcc_lo
	v_cmp_gt_i32_e32 vcc_lo, 31, v17
	v_bfe_u32 v22, v8, 20, 11
	v_lshrrev_b32_e32 v8, 16, v8
	v_lshlrev_b32_e32 v18, v18, v19
	v_lshl_or_b32 v15, v15, 9, 0x7c00
	v_cndmask_b32_e32 v12, 0x7c00, v12, vcc_lo
	v_cmp_ne_u32_e32 vcc_lo, 0, v7
	v_cndmask_b32_e64 v7, 0, 1, vcc_lo
	v_cmp_ne_u32_e32 vcc_lo, v18, v16
	v_add_nc_u32_e32 v18, 0xfffffc10, v21
	v_and_or_b32 v7, 0xffe, v20, v7
	v_cndmask_b32_e64 v16, 0, 1, vcc_lo
	v_sub_nc_u32_e32 v20, 0x3f1, v22
	v_cmp_eq_u32_e32 vcc_lo, 0x40f, v17
	v_and_or_b32 v9, 0x1ff, v10, v9
	v_or_b32_e32 v17, 0x1000, v7
	v_bfe_u32 v21, v10, 20, 11
	v_cndmask_b32_e32 v12, v12, v15, vcc_lo
	v_or_b32_e32 v15, v19, v16
	v_lshl_or_b32 v16, v18, 12, v0
	v_med3_i32 v19, v20, 0, 13
	v_cmp_gt_i32_e32 vcc_lo, 1, v18
	v_lshrrev_b32_e32 v20, 8, v10
	v_and_or_b32 v4, 0x8000, v4, v12
	v_sub_nc_u32_e32 v12, 0x3f1, v21
	v_cndmask_b32_e32 v15, v16, v15, vcc_lo
	v_lshrrev_b32_e32 v16, v19, v17
	v_cmp_ne_u32_e32 vcc_lo, 0, v9
	v_med3_i32 v12, v12, 0, 13
	v_and_b32_e32 v4, 0xffff, v4
	v_and_b32_e32 v23, 7, v15
	v_lshlrev_b32_e32 v19, v19, v16
	v_cndmask_b32_e64 v9, 0, 1, vcc_lo
	v_lshrrev_b32_e32 v15, 2, v15
	v_cmp_lt_i32_e32 vcc_lo, 5, v23
	v_cmp_ne_u32_e64 s0, v19, v17
	v_and_or_b32 v9, 0xffe, v20, v9
	v_add_nc_u32_e32 v20, 0xfffffc10, v22
	v_cndmask_b32_e64 v17, 0, 1, s0
	v_cmp_eq_u32_e64 s0, 3, v23
	v_or_b32_e32 v19, 0x1000, v9
	v_lshl_or_b32 v22, v20, 12, v7
	v_or_b32_e32 v16, v16, v17
	s_or_b32 vcc_lo, s0, vcc_lo
	v_lshrrev_b32_e32 v17, v12, v19
	v_add_co_ci_u32_e32 v15, vcc_lo, 0, v15, vcc_lo
	v_cmp_gt_i32_e32 vcc_lo, 1, v20
	v_lshlrev_b32_e32 v12, v12, v17
	v_cndmask_b32_e32 v16, v22, v16, vcc_lo
	v_cmp_ne_u32_e32 vcc_lo, 0, v0
	v_cndmask_b32_e64 v0, 0, 1, vcc_lo
	v_cmp_ne_u32_e32 vcc_lo, v12, v19
	v_add_nc_u32_e32 v19, 0xfffffc10, v21
	v_and_b32_e32 v21, 7, v16
	v_lshl_or_b32 v0, v0, 9, 0x7c00
	v_cndmask_b32_e64 v12, 0, 1, vcc_lo
	v_cmp_gt_i32_e32 vcc_lo, 31, v18
	v_cmp_gt_i32_e64 s1, 1, v19
	v_cmp_eq_u32_e64 s0, 3, v21
	v_or_b32_e32 v12, v17, v12
	v_lshl_or_b32 v17, v19, 12, v9
	v_cndmask_b32_e32 v15, 0x7c00, v15, vcc_lo
	v_cmp_lt_i32_e32 vcc_lo, 5, v21
	v_cndmask_b32_e64 v12, v17, v12, s1
	v_cmp_eq_u32_e64 s1, 0x40f, v18
	s_or_b32 vcc_lo, s0, vcc_lo
	v_cndmask_b32_e64 v0, v15, v0, s1
	v_lshrrev_b32_e32 v15, 2, v16
	v_and_b32_e32 v16, 7, v12
	v_lshrrev_b32_e32 v12, 2, v12
	v_cmp_gt_i32_e64 s1, 31, v20
	v_add_co_ci_u32_e32 v15, vcc_lo, 0, v15, vcc_lo
	v_cmp_ne_u32_e32 vcc_lo, 0, v7
	v_cmp_eq_u32_e64 s0, 3, v16
	v_cndmask_b32_e64 v15, 0x7c00, v15, s1
	v_cndmask_b32_e64 v7, 0, 1, vcc_lo
	v_cmp_lt_i32_e32 vcc_lo, 5, v16
	v_lshl_or_b32 v7, v7, 9, 0x7c00
	s_or_b32 vcc_lo, s0, vcc_lo
	v_add_co_ci_u32_e32 v12, vcc_lo, 0, v12, vcc_lo
	v_cmp_ne_u32_e32 vcc_lo, 0, v9
	v_cndmask_b32_e64 v9, 0, 1, vcc_lo
	v_cmp_eq_u32_e32 vcc_lo, 0x40f, v20
	v_lshl_or_b32 v9, v9, 9, 0x7c00
	v_cndmask_b32_e32 v7, v15, v7, vcc_lo
	v_cmp_gt_i32_e32 vcc_lo, 31, v19
	v_and_or_b32 v15, 0x8000, v1, v0
	v_and_or_b32 v7, 0x8000, v8, v7
	v_cndmask_b32_e32 v12, 0x7c00, v12, vcc_lo
	v_cmp_eq_u32_e32 vcc_lo, 0x40f, v19
	v_lshl_or_b32 v4, v15, 16, v4
	v_cndmask_b32_e32 v8, v12, v9, vcc_lo
	v_lshrrev_b32_e32 v9, 16, v10
	v_add_co_u32 v0, vcc_lo, v2, s3
	v_add_co_ci_u32_e32 v1, vcc_lo, s2, v3, vcc_lo
	v_and_or_b32 v9, 0x8000, v9, v8
	v_and_b32_e32 v10, 0xffff, v7
	v_add_co_u32 v7, vcc_lo, v0, s7
	v_add_co_ci_u32_e32 v8, vcc_lo, s6, v1, vcc_lo
	v_lshl_or_b32 v12, v9, 16, v10
	v_add_co_u32 v9, vcc_lo, v7, s3
	v_add_co_ci_u32_e32 v10, vcc_lo, s2, v8, vcc_lo
	global_store_dword v[5:6], v13, off
	global_store_dword v[2:3], v14, off
	global_store_dword v[0:1], v11, off
	global_store_dword v[7:8], v4, off
	global_store_dword v[9:10], v12, off
.LBB0_10:
	s_endpgm
	.section	.rodata,"a",@progbits
	.p2align	6, 0x0
	.amdhsa_kernel bluestein_single_back_len110_dim1_half_op_CI_CI
		.amdhsa_group_segment_fixed_size 7920
		.amdhsa_private_segment_fixed_size 0
		.amdhsa_kernarg_size 104
		.amdhsa_user_sgpr_count 6
		.amdhsa_user_sgpr_private_segment_buffer 1
		.amdhsa_user_sgpr_dispatch_ptr 0
		.amdhsa_user_sgpr_queue_ptr 0
		.amdhsa_user_sgpr_kernarg_segment_ptr 1
		.amdhsa_user_sgpr_dispatch_id 0
		.amdhsa_user_sgpr_flat_scratch_init 0
		.amdhsa_user_sgpr_private_segment_size 0
		.amdhsa_wavefront_size32 1
		.amdhsa_uses_dynamic_stack 0
		.amdhsa_system_sgpr_private_segment_wavefront_offset 0
		.amdhsa_system_sgpr_workgroup_id_x 1
		.amdhsa_system_sgpr_workgroup_id_y 0
		.amdhsa_system_sgpr_workgroup_id_z 0
		.amdhsa_system_sgpr_workgroup_info 0
		.amdhsa_system_vgpr_workitem_id 0
		.amdhsa_next_free_vgpr 146
		.amdhsa_next_free_sgpr 20
		.amdhsa_reserve_vcc 1
		.amdhsa_reserve_flat_scratch 0
		.amdhsa_float_round_mode_32 0
		.amdhsa_float_round_mode_16_64 0
		.amdhsa_float_denorm_mode_32 3
		.amdhsa_float_denorm_mode_16_64 3
		.amdhsa_dx10_clamp 1
		.amdhsa_ieee_mode 1
		.amdhsa_fp16_overflow 0
		.amdhsa_workgroup_processor_mode 1
		.amdhsa_memory_ordered 1
		.amdhsa_forward_progress 0
		.amdhsa_shared_vgpr_count 0
		.amdhsa_exception_fp_ieee_invalid_op 0
		.amdhsa_exception_fp_denorm_src 0
		.amdhsa_exception_fp_ieee_div_zero 0
		.amdhsa_exception_fp_ieee_overflow 0
		.amdhsa_exception_fp_ieee_underflow 0
		.amdhsa_exception_fp_ieee_inexact 0
		.amdhsa_exception_int_div_zero 0
	.end_amdhsa_kernel
	.text
.Lfunc_end0:
	.size	bluestein_single_back_len110_dim1_half_op_CI_CI, .Lfunc_end0-bluestein_single_back_len110_dim1_half_op_CI_CI
                                        ; -- End function
	.section	.AMDGPU.csdata,"",@progbits
; Kernel info:
; codeLenInByte = 15124
; NumSgprs: 22
; NumVgprs: 146
; ScratchSize: 0
; MemoryBound: 0
; FloatMode: 240
; IeeeMode: 1
; LDSByteSize: 7920 bytes/workgroup (compile time only)
; SGPRBlocks: 2
; VGPRBlocks: 18
; NumSGPRsForWavesPerEU: 22
; NumVGPRsForWavesPerEU: 146
; Occupancy: 6
; WaveLimiterHint : 1
; COMPUTE_PGM_RSRC2:SCRATCH_EN: 0
; COMPUTE_PGM_RSRC2:USER_SGPR: 6
; COMPUTE_PGM_RSRC2:TRAP_HANDLER: 0
; COMPUTE_PGM_RSRC2:TGID_X_EN: 1
; COMPUTE_PGM_RSRC2:TGID_Y_EN: 0
; COMPUTE_PGM_RSRC2:TGID_Z_EN: 0
; COMPUTE_PGM_RSRC2:TIDIG_COMP_CNT: 0
	.text
	.p2alignl 6, 3214868480
	.fill 48, 4, 3214868480
	.type	__hip_cuid_61155dbc0206d43b,@object ; @__hip_cuid_61155dbc0206d43b
	.section	.bss,"aw",@nobits
	.globl	__hip_cuid_61155dbc0206d43b
__hip_cuid_61155dbc0206d43b:
	.byte	0                               ; 0x0
	.size	__hip_cuid_61155dbc0206d43b, 1

	.ident	"AMD clang version 19.0.0git (https://github.com/RadeonOpenCompute/llvm-project roc-6.4.0 25133 c7fe45cf4b819c5991fe208aaa96edf142730f1d)"
	.section	".note.GNU-stack","",@progbits
	.addrsig
	.addrsig_sym __hip_cuid_61155dbc0206d43b
	.amdgpu_metadata
---
amdhsa.kernels:
  - .args:
      - .actual_access:  read_only
        .address_space:  global
        .offset:         0
        .size:           8
        .value_kind:     global_buffer
      - .actual_access:  read_only
        .address_space:  global
        .offset:         8
        .size:           8
        .value_kind:     global_buffer
      - .actual_access:  read_only
        .address_space:  global
        .offset:         16
        .size:           8
        .value_kind:     global_buffer
      - .actual_access:  read_only
        .address_space:  global
        .offset:         24
        .size:           8
        .value_kind:     global_buffer
      - .actual_access:  read_only
        .address_space:  global
        .offset:         32
        .size:           8
        .value_kind:     global_buffer
      - .offset:         40
        .size:           8
        .value_kind:     by_value
      - .address_space:  global
        .offset:         48
        .size:           8
        .value_kind:     global_buffer
      - .address_space:  global
        .offset:         56
        .size:           8
        .value_kind:     global_buffer
      - .address_space:  global
        .offset:         64
        .size:           8
        .value_kind:     global_buffer
      - .address_space:  global
        .offset:         72
        .size:           8
        .value_kind:     global_buffer
      - .offset:         80
        .size:           4
        .value_kind:     by_value
      - .address_space:  global
        .offset:         88
        .size:           8
        .value_kind:     global_buffer
      - .address_space:  global
        .offset:         96
        .size:           8
        .value_kind:     global_buffer
    .group_segment_fixed_size: 7920
    .kernarg_segment_align: 8
    .kernarg_segment_size: 104
    .language:       OpenCL C
    .language_version:
      - 2
      - 0
    .max_flat_workgroup_size: 198
    .name:           bluestein_single_back_len110_dim1_half_op_CI_CI
    .private_segment_fixed_size: 0
    .sgpr_count:     22
    .sgpr_spill_count: 0
    .symbol:         bluestein_single_back_len110_dim1_half_op_CI_CI.kd
    .uniform_work_group_size: 1
    .uses_dynamic_stack: false
    .vgpr_count:     146
    .vgpr_spill_count: 0
    .wavefront_size: 32
    .workgroup_processor_mode: 1
amdhsa.target:   amdgcn-amd-amdhsa--gfx1030
amdhsa.version:
  - 1
  - 2
...

	.end_amdgpu_metadata
